;; amdgpu-corpus repo=ROCm/rocFFT kind=compiled arch=gfx1100 opt=O3
	.text
	.amdgcn_target "amdgcn-amd-amdhsa--gfx1100"
	.amdhsa_code_object_version 6
	.protected	fft_rtc_fwd_len1925_factors_7_11_5_5_wgs_55_tpt_55_halfLds_dp_ip_CI_unitstride_sbrr_dirReg ; -- Begin function fft_rtc_fwd_len1925_factors_7_11_5_5_wgs_55_tpt_55_halfLds_dp_ip_CI_unitstride_sbrr_dirReg
	.globl	fft_rtc_fwd_len1925_factors_7_11_5_5_wgs_55_tpt_55_halfLds_dp_ip_CI_unitstride_sbrr_dirReg
	.p2align	8
	.type	fft_rtc_fwd_len1925_factors_7_11_5_5_wgs_55_tpt_55_halfLds_dp_ip_CI_unitstride_sbrr_dirReg,@function
fft_rtc_fwd_len1925_factors_7_11_5_5_wgs_55_tpt_55_halfLds_dp_ip_CI_unitstride_sbrr_dirReg: ; @fft_rtc_fwd_len1925_factors_7_11_5_5_wgs_55_tpt_55_halfLds_dp_ip_CI_unitstride_sbrr_dirReg
; %bb.0:
	s_clause 0x2
	s_load_b128 s[4:7], s[0:1], 0x0
	s_load_b64 s[8:9], s[0:1], 0x50
	s_load_b64 s[10:11], s[0:1], 0x18
	v_mul_u32_u24_e32 v1, 0x4a8, v0
	v_mov_b32_e32 v3, 0
	v_mov_b32_e32 v4, 0
	s_delay_alu instid0(VALU_DEP_3) | instskip(SKIP_1) | instid1(VALU_DEP_1)
	v_lshrrev_b32_e32 v2, 16, v1
	v_mov_b32_e32 v1, 0
	v_dual_mov_b32 v6, v1 :: v_dual_add_nc_u32 v5, s15, v2
	s_waitcnt lgkmcnt(0)
	v_cmp_lt_u64_e64 s2, s[6:7], 2
	s_delay_alu instid0(VALU_DEP_1)
	s_and_b32 vcc_lo, exec_lo, s2
	s_cbranch_vccnz .LBB0_8
; %bb.1:
	s_load_b64 s[2:3], s[0:1], 0x10
	v_mov_b32_e32 v3, 0
	s_add_u32 s12, s10, 8
	v_mov_b32_e32 v4, 0
	s_addc_u32 s13, s11, 0
	s_mov_b64 s[16:17], 1
	s_waitcnt lgkmcnt(0)
	s_add_u32 s14, s2, 8
	s_addc_u32 s15, s3, 0
.LBB0_2:                                ; =>This Inner Loop Header: Depth=1
	s_load_b64 s[18:19], s[14:15], 0x0
                                        ; implicit-def: $vgpr7_vgpr8
	s_mov_b32 s2, exec_lo
	s_waitcnt lgkmcnt(0)
	v_or_b32_e32 v2, s19, v6
	s_delay_alu instid0(VALU_DEP_1)
	v_cmpx_ne_u64_e32 0, v[1:2]
	s_xor_b32 s3, exec_lo, s2
	s_cbranch_execz .LBB0_4
; %bb.3:                                ;   in Loop: Header=BB0_2 Depth=1
	v_cvt_f32_u32_e32 v2, s18
	v_cvt_f32_u32_e32 v7, s19
	s_sub_u32 s2, 0, s18
	s_subb_u32 s20, 0, s19
	s_delay_alu instid0(VALU_DEP_1) | instskip(NEXT) | instid1(VALU_DEP_1)
	v_fmac_f32_e32 v2, 0x4f800000, v7
	v_rcp_f32_e32 v2, v2
	s_waitcnt_depctr 0xfff
	v_mul_f32_e32 v2, 0x5f7ffffc, v2
	s_delay_alu instid0(VALU_DEP_1) | instskip(NEXT) | instid1(VALU_DEP_1)
	v_mul_f32_e32 v7, 0x2f800000, v2
	v_trunc_f32_e32 v7, v7
	s_delay_alu instid0(VALU_DEP_1) | instskip(SKIP_1) | instid1(VALU_DEP_2)
	v_fmac_f32_e32 v2, 0xcf800000, v7
	v_cvt_u32_f32_e32 v7, v7
	v_cvt_u32_f32_e32 v2, v2
	s_delay_alu instid0(VALU_DEP_2) | instskip(NEXT) | instid1(VALU_DEP_2)
	v_mul_lo_u32 v8, s2, v7
	v_mul_hi_u32 v9, s2, v2
	v_mul_lo_u32 v10, s20, v2
	s_delay_alu instid0(VALU_DEP_2) | instskip(SKIP_1) | instid1(VALU_DEP_2)
	v_add_nc_u32_e32 v8, v9, v8
	v_mul_lo_u32 v9, s2, v2
	v_add_nc_u32_e32 v8, v8, v10
	s_delay_alu instid0(VALU_DEP_2) | instskip(NEXT) | instid1(VALU_DEP_2)
	v_mul_hi_u32 v10, v2, v9
	v_mul_lo_u32 v11, v2, v8
	v_mul_hi_u32 v12, v2, v8
	v_mul_hi_u32 v13, v7, v9
	v_mul_lo_u32 v9, v7, v9
	v_mul_hi_u32 v14, v7, v8
	v_mul_lo_u32 v8, v7, v8
	v_add_co_u32 v10, vcc_lo, v10, v11
	v_add_co_ci_u32_e32 v11, vcc_lo, 0, v12, vcc_lo
	s_delay_alu instid0(VALU_DEP_2) | instskip(NEXT) | instid1(VALU_DEP_2)
	v_add_co_u32 v9, vcc_lo, v10, v9
	v_add_co_ci_u32_e32 v9, vcc_lo, v11, v13, vcc_lo
	v_add_co_ci_u32_e32 v10, vcc_lo, 0, v14, vcc_lo
	s_delay_alu instid0(VALU_DEP_2) | instskip(NEXT) | instid1(VALU_DEP_2)
	v_add_co_u32 v8, vcc_lo, v9, v8
	v_add_co_ci_u32_e32 v9, vcc_lo, 0, v10, vcc_lo
	s_delay_alu instid0(VALU_DEP_2) | instskip(NEXT) | instid1(VALU_DEP_2)
	v_add_co_u32 v2, vcc_lo, v2, v8
	v_add_co_ci_u32_e32 v7, vcc_lo, v7, v9, vcc_lo
	s_delay_alu instid0(VALU_DEP_2) | instskip(SKIP_1) | instid1(VALU_DEP_3)
	v_mul_hi_u32 v8, s2, v2
	v_mul_lo_u32 v10, s20, v2
	v_mul_lo_u32 v9, s2, v7
	s_delay_alu instid0(VALU_DEP_1) | instskip(SKIP_1) | instid1(VALU_DEP_2)
	v_add_nc_u32_e32 v8, v8, v9
	v_mul_lo_u32 v9, s2, v2
	v_add_nc_u32_e32 v8, v8, v10
	s_delay_alu instid0(VALU_DEP_2) | instskip(NEXT) | instid1(VALU_DEP_2)
	v_mul_hi_u32 v10, v2, v9
	v_mul_lo_u32 v11, v2, v8
	v_mul_hi_u32 v12, v2, v8
	v_mul_hi_u32 v13, v7, v9
	v_mul_lo_u32 v9, v7, v9
	v_mul_hi_u32 v14, v7, v8
	v_mul_lo_u32 v8, v7, v8
	v_add_co_u32 v10, vcc_lo, v10, v11
	v_add_co_ci_u32_e32 v11, vcc_lo, 0, v12, vcc_lo
	s_delay_alu instid0(VALU_DEP_2) | instskip(NEXT) | instid1(VALU_DEP_2)
	v_add_co_u32 v9, vcc_lo, v10, v9
	v_add_co_ci_u32_e32 v9, vcc_lo, v11, v13, vcc_lo
	v_add_co_ci_u32_e32 v10, vcc_lo, 0, v14, vcc_lo
	s_delay_alu instid0(VALU_DEP_2) | instskip(NEXT) | instid1(VALU_DEP_2)
	v_add_co_u32 v8, vcc_lo, v9, v8
	v_add_co_ci_u32_e32 v9, vcc_lo, 0, v10, vcc_lo
	s_delay_alu instid0(VALU_DEP_2) | instskip(NEXT) | instid1(VALU_DEP_2)
	v_add_co_u32 v2, vcc_lo, v2, v8
	v_add_co_ci_u32_e32 v13, vcc_lo, v7, v9, vcc_lo
	s_delay_alu instid0(VALU_DEP_2) | instskip(SKIP_1) | instid1(VALU_DEP_3)
	v_mul_hi_u32 v14, v5, v2
	v_mad_u64_u32 v[9:10], null, v6, v2, 0
	v_mad_u64_u32 v[7:8], null, v5, v13, 0
	;; [unrolled: 1-line block ×3, first 2 shown]
	s_delay_alu instid0(VALU_DEP_2) | instskip(NEXT) | instid1(VALU_DEP_3)
	v_add_co_u32 v2, vcc_lo, v14, v7
	v_add_co_ci_u32_e32 v7, vcc_lo, 0, v8, vcc_lo
	s_delay_alu instid0(VALU_DEP_2) | instskip(NEXT) | instid1(VALU_DEP_2)
	v_add_co_u32 v2, vcc_lo, v2, v9
	v_add_co_ci_u32_e32 v2, vcc_lo, v7, v10, vcc_lo
	v_add_co_ci_u32_e32 v7, vcc_lo, 0, v12, vcc_lo
	s_delay_alu instid0(VALU_DEP_2) | instskip(NEXT) | instid1(VALU_DEP_2)
	v_add_co_u32 v2, vcc_lo, v2, v11
	v_add_co_ci_u32_e32 v9, vcc_lo, 0, v7, vcc_lo
	s_delay_alu instid0(VALU_DEP_2) | instskip(SKIP_1) | instid1(VALU_DEP_3)
	v_mul_lo_u32 v10, s19, v2
	v_mad_u64_u32 v[7:8], null, s18, v2, 0
	v_mul_lo_u32 v11, s18, v9
	s_delay_alu instid0(VALU_DEP_2) | instskip(NEXT) | instid1(VALU_DEP_2)
	v_sub_co_u32 v7, vcc_lo, v5, v7
	v_add3_u32 v8, v8, v11, v10
	s_delay_alu instid0(VALU_DEP_1) | instskip(NEXT) | instid1(VALU_DEP_1)
	v_sub_nc_u32_e32 v10, v6, v8
	v_subrev_co_ci_u32_e64 v10, s2, s19, v10, vcc_lo
	v_add_co_u32 v11, s2, v2, 2
	s_delay_alu instid0(VALU_DEP_1) | instskip(SKIP_3) | instid1(VALU_DEP_3)
	v_add_co_ci_u32_e64 v12, s2, 0, v9, s2
	v_sub_co_u32 v13, s2, v7, s18
	v_sub_co_ci_u32_e32 v8, vcc_lo, v6, v8, vcc_lo
	v_subrev_co_ci_u32_e64 v10, s2, 0, v10, s2
	v_cmp_le_u32_e32 vcc_lo, s18, v13
	s_delay_alu instid0(VALU_DEP_3) | instskip(SKIP_1) | instid1(VALU_DEP_4)
	v_cmp_eq_u32_e64 s2, s19, v8
	v_cndmask_b32_e64 v13, 0, -1, vcc_lo
	v_cmp_le_u32_e32 vcc_lo, s19, v10
	v_cndmask_b32_e64 v14, 0, -1, vcc_lo
	v_cmp_le_u32_e32 vcc_lo, s18, v7
	;; [unrolled: 2-line block ×3, first 2 shown]
	v_cndmask_b32_e64 v15, 0, -1, vcc_lo
	v_cmp_eq_u32_e32 vcc_lo, s19, v10
	s_delay_alu instid0(VALU_DEP_2) | instskip(SKIP_3) | instid1(VALU_DEP_3)
	v_cndmask_b32_e64 v7, v15, v7, s2
	v_cndmask_b32_e32 v10, v14, v13, vcc_lo
	v_add_co_u32 v13, vcc_lo, v2, 1
	v_add_co_ci_u32_e32 v14, vcc_lo, 0, v9, vcc_lo
	v_cmp_ne_u32_e32 vcc_lo, 0, v10
	s_delay_alu instid0(VALU_DEP_2) | instskip(NEXT) | instid1(VALU_DEP_4)
	v_cndmask_b32_e32 v8, v14, v12, vcc_lo
	v_cndmask_b32_e32 v10, v13, v11, vcc_lo
	v_cmp_ne_u32_e32 vcc_lo, 0, v7
	s_delay_alu instid0(VALU_DEP_2)
	v_dual_cndmask_b32 v7, v2, v10 :: v_dual_cndmask_b32 v8, v9, v8
.LBB0_4:                                ;   in Loop: Header=BB0_2 Depth=1
	s_and_not1_saveexec_b32 s2, s3
	s_cbranch_execz .LBB0_6
; %bb.5:                                ;   in Loop: Header=BB0_2 Depth=1
	v_cvt_f32_u32_e32 v2, s18
	s_sub_i32 s3, 0, s18
	s_delay_alu instid0(VALU_DEP_1) | instskip(SKIP_2) | instid1(VALU_DEP_1)
	v_rcp_iflag_f32_e32 v2, v2
	s_waitcnt_depctr 0xfff
	v_mul_f32_e32 v2, 0x4f7ffffe, v2
	v_cvt_u32_f32_e32 v2, v2
	s_delay_alu instid0(VALU_DEP_1) | instskip(NEXT) | instid1(VALU_DEP_1)
	v_mul_lo_u32 v7, s3, v2
	v_mul_hi_u32 v7, v2, v7
	s_delay_alu instid0(VALU_DEP_1) | instskip(NEXT) | instid1(VALU_DEP_1)
	v_add_nc_u32_e32 v2, v2, v7
	v_mul_hi_u32 v2, v5, v2
	s_delay_alu instid0(VALU_DEP_1) | instskip(SKIP_1) | instid1(VALU_DEP_2)
	v_mul_lo_u32 v7, v2, s18
	v_add_nc_u32_e32 v8, 1, v2
	v_sub_nc_u32_e32 v7, v5, v7
	s_delay_alu instid0(VALU_DEP_1) | instskip(SKIP_1) | instid1(VALU_DEP_2)
	v_subrev_nc_u32_e32 v9, s18, v7
	v_cmp_le_u32_e32 vcc_lo, s18, v7
	v_dual_cndmask_b32 v7, v7, v9 :: v_dual_cndmask_b32 v2, v2, v8
	s_delay_alu instid0(VALU_DEP_1) | instskip(NEXT) | instid1(VALU_DEP_2)
	v_cmp_le_u32_e32 vcc_lo, s18, v7
	v_add_nc_u32_e32 v8, 1, v2
	s_delay_alu instid0(VALU_DEP_1)
	v_dual_cndmask_b32 v7, v2, v8 :: v_dual_mov_b32 v8, v1
.LBB0_6:                                ;   in Loop: Header=BB0_2 Depth=1
	s_or_b32 exec_lo, exec_lo, s2
	s_load_b64 s[2:3], s[12:13], 0x0
	s_delay_alu instid0(VALU_DEP_1) | instskip(NEXT) | instid1(VALU_DEP_2)
	v_mul_lo_u32 v2, v8, s18
	v_mul_lo_u32 v11, v7, s19
	v_mad_u64_u32 v[9:10], null, v7, s18, 0
	s_add_u32 s16, s16, 1
	s_addc_u32 s17, s17, 0
	s_add_u32 s12, s12, 8
	s_addc_u32 s13, s13, 0
	;; [unrolled: 2-line block ×3, first 2 shown]
	s_delay_alu instid0(VALU_DEP_1) | instskip(SKIP_1) | instid1(VALU_DEP_2)
	v_add3_u32 v2, v10, v11, v2
	v_sub_co_u32 v9, vcc_lo, v5, v9
	v_sub_co_ci_u32_e32 v2, vcc_lo, v6, v2, vcc_lo
	s_waitcnt lgkmcnt(0)
	s_delay_alu instid0(VALU_DEP_2) | instskip(NEXT) | instid1(VALU_DEP_2)
	v_mul_lo_u32 v10, s3, v9
	v_mul_lo_u32 v2, s2, v2
	v_mad_u64_u32 v[5:6], null, s2, v9, v[3:4]
	v_cmp_ge_u64_e64 s2, s[16:17], s[6:7]
	s_delay_alu instid0(VALU_DEP_1) | instskip(NEXT) | instid1(VALU_DEP_2)
	s_and_b32 vcc_lo, exec_lo, s2
	v_add3_u32 v4, v10, v6, v2
	s_delay_alu instid0(VALU_DEP_3)
	v_mov_b32_e32 v3, v5
	s_cbranch_vccnz .LBB0_9
; %bb.7:                                ;   in Loop: Header=BB0_2 Depth=1
	v_dual_mov_b32 v5, v7 :: v_dual_mov_b32 v6, v8
	s_branch .LBB0_2
.LBB0_8:
	v_dual_mov_b32 v8, v6 :: v_dual_mov_b32 v7, v5
.LBB0_9:
	s_lshl_b64 s[2:3], s[6:7], 3
                                        ; implicit-def: $vgpr178_vgpr179
                                        ; implicit-def: $vgpr174_vgpr175
                                        ; implicit-def: $vgpr162_vgpr163
                                        ; implicit-def: $vgpr150_vgpr151
                                        ; implicit-def: $vgpr146_vgpr147
                                        ; implicit-def: $vgpr138_vgpr139
                                        ; implicit-def: $vgpr126_vgpr127
                                        ; implicit-def: $vgpr194_vgpr195
                                        ; implicit-def: $vgpr182_vgpr183
                                        ; implicit-def: $vgpr154_vgpr155
                                        ; implicit-def: $vgpr158_vgpr159
                                        ; implicit-def: $vgpr134_vgpr135
                                        ; implicit-def: $vgpr142_vgpr143
                                        ; implicit-def: $vgpr110_vgpr111
                                        ; implicit-def: $vgpr210_vgpr211
                                        ; implicit-def: $vgpr186_vgpr187
                                        ; implicit-def: $vgpr166_vgpr167
                                        ; implicit-def: $vgpr122_vgpr123
                                        ; implicit-def: $vgpr130_vgpr131
                                        ; implicit-def: $vgpr114_vgpr115
                                        ; implicit-def: $vgpr106_vgpr107
                                        ; implicit-def: $vgpr214_vgpr215
                                        ; implicit-def: $vgpr202_vgpr203
                                        ; implicit-def: $vgpr190_vgpr191
                                        ; implicit-def: $vgpr118_vgpr119
                                        ; implicit-def: $vgpr98_vgpr99
                                        ; implicit-def: $vgpr102_vgpr103
                                        ; implicit-def: $vgpr222_vgpr223
                                        ; implicit-def: $vgpr218_vgpr219
                                        ; implicit-def: $vgpr206_vgpr207
                                        ; implicit-def: $vgpr198_vgpr199
                                        ; implicit-def: $vgpr94_vgpr95
                                        ; implicit-def: $vgpr170_vgpr171
	s_delay_alu instid0(SALU_CYCLE_1)
	s_add_u32 s2, s10, s2
	s_addc_u32 s3, s11, s3
	s_load_b64 s[2:3], s[2:3], 0x0
	s_load_b64 s[0:1], s[0:1], 0x20
	s_waitcnt lgkmcnt(0)
	v_mul_lo_u32 v5, s2, v8
	v_mul_lo_u32 v6, s3, v7
	v_mad_u64_u32 v[1:2], null, s2, v7, v[3:4]
	v_mul_hi_u32 v3, 0x4a7904b, v0
	v_cmp_gt_u64_e32 vcc_lo, s[0:1], v[7:8]
	s_delay_alu instid0(VALU_DEP_3) | instskip(NEXT) | instid1(VALU_DEP_3)
	v_add3_u32 v2, v6, v2, v5
                                        ; implicit-def: $vgpr6_vgpr7
	v_mul_u32_u24_e32 v3, 55, v3
	s_delay_alu instid0(VALU_DEP_2) | instskip(NEXT) | instid1(VALU_DEP_2)
	v_lshlrev_b64 v[1:2], 4, v[1:2]
	v_sub_nc_u32_e32 v226, v0, v3
	scratch_store_b64 off, v[1:2], off      ; 8-byte Folded Spill
                                        ; implicit-def: $vgpr2_vgpr3
	s_and_saveexec_b32 s1, vcc_lo
	s_cbranch_execz .LBB0_11
; %bb.10:
	scratch_load_b64 v[2:3], off, off       ; 8-byte Folded Reload
	v_mov_b32_e32 v227, 0
	s_delay_alu instid0(VALU_DEP_1) | instskip(SKIP_2) | instid1(VALU_DEP_1)
	v_lshlrev_b64 v[0:1], 4, v[226:227]
	s_waitcnt vmcnt(0)
	v_add_co_u32 v2, s0, s8, v2
	v_add_co_ci_u32_e64 v3, s0, s9, v3, s0
	s_delay_alu instid0(VALU_DEP_2) | instskip(NEXT) | instid1(VALU_DEP_1)
	v_add_co_u32 v8, s0, v2, v0
	v_add_co_ci_u32_e64 v9, s0, v3, v1, s0
	s_delay_alu instid0(VALU_DEP_2) | instskip(NEXT) | instid1(VALU_DEP_1)
	v_add_co_u32 v10, s0, 0x1000, v8
	v_add_co_ci_u32_e64 v11, s0, 0, v9, s0
	v_add_co_u32 v12, s0, 0x2000, v8
	s_delay_alu instid0(VALU_DEP_1) | instskip(SKIP_1) | instid1(VALU_DEP_1)
	v_add_co_ci_u32_e64 v13, s0, 0, v9, s0
	v_add_co_u32 v14, s0, 0x3000, v8
	v_add_co_ci_u32_e64 v15, s0, 0, v9, s0
	v_add_co_u32 v16, s0, 0x4000, v8
	s_delay_alu instid0(VALU_DEP_1) | instskip(SKIP_1) | instid1(VALU_DEP_1)
	v_add_co_ci_u32_e64 v17, s0, 0, v9, s0
	v_add_co_u32 v18, s0, 0x5000, v8
	v_add_co_ci_u32_e64 v19, s0, 0, v9, s0
	v_add_co_u32 v20, s0, 0x6000, v8
	s_delay_alu instid0(VALU_DEP_1)
	v_add_co_ci_u32_e64 v21, s0, 0, v9, s0
	s_clause 0xb
	global_load_b128 v[4:7], v[8:9], off
	global_load_b128 v[0:3], v[8:9], off offset:880
	global_load_b128 v[92:95], v[12:13], off offset:608
	;; [unrolled: 1-line block ×11, first 2 shown]
	v_add_co_u32 v12, s0, 0x7000, v8
	s_delay_alu instid0(VALU_DEP_1)
	v_add_co_ci_u32_e64 v13, s0, 0, v9, s0
	s_clause 0x16
	global_load_b128 v[168:171], v[10:11], off offset:304
	global_load_b128 v[124:127], v[8:9], off offset:3520
	;; [unrolled: 1-line block ×23, first 2 shown]
.LBB0_11:
	s_or_b32 exec_lo, exec_lo, s1
	s_waitcnt vmcnt(6)
	v_add_f64 v[8:9], v[220:221], v[168:169]
	v_add_f64 v[10:11], v[216:217], v[92:93]
	s_waitcnt vmcnt(5)
	v_add_f64 v[12:13], v[212:213], v[100:101]
	v_add_f64 v[14:15], v[200:201], v[96:97]
	;; [unrolled: 3-line block ×5, first 2 shown]
	v_add_f64 v[28:29], v[94:95], -v[218:219]
	v_add_f64 v[30:31], v[204:205], v[196:197]
	v_add_f64 v[32:33], v[206:207], -v[198:199]
	v_add_f64 v[34:35], v[170:171], -v[222:223]
	;; [unrolled: 1-line block ×4, first 2 shown]
	v_add_f64 v[40:41], v[188:189], v[116:117]
	v_add_f64 v[42:43], v[102:103], -v[214:215]
	v_add_f64 v[44:45], v[130:131], -v[186:187]
	v_add_f64 v[46:47], v[166:167], -v[122:123]
	v_add_f64 v[50:51], v[164:165], v[120:121]
	v_add_f64 v[52:53], v[114:115], -v[210:211]
	v_add_f64 v[56:57], v[134:135], -v[182:183]
	v_add_f64 v[58:59], v[154:155], -v[158:159]
	;; [unrolled: 4-line block ×3, first 2 shown]
	v_add_f64 v[72:73], v[160:161], v[148:149]
	v_add_f64 v[76:77], v[138:139], -v[178:179]
	s_mov_b32 s18, 0x37e14327
	s_mov_b32 s20, 0xe976ee23
	;; [unrolled: 1-line block ×9, first 2 shown]
	v_add_f64 v[48:49], v[10:11], v[8:9]
	s_mov_b32 s16, 0xb247c609
	v_add_f64 v[54:55], v[14:15], v[12:13]
	s_mov_b32 s12, 0x5476071b
	;; [unrolled: 2-line block ×5, first 2 shown]
	v_add_f64 v[78:79], v[8:9], -v[30:31]
	v_add_f64 v[80:81], v[32:33], -v[28:29]
	;; [unrolled: 1-line block ×9, first 2 shown]
	v_add_f64 v[28:29], v[32:33], v[28:29]
	v_add_f64 v[229:230], v[50:51], -v[18:19]
	v_add_f64 v[8:9], v[10:11], -v[8:9]
	;; [unrolled: 1-line block ×5, first 2 shown]
	v_add_f64 v[36:37], v[38:39], v[36:37]
	v_add_f64 v[12:13], v[14:15], -v[12:13]
	v_add_f64 v[235:236], v[24:25], -v[72:73]
	;; [unrolled: 1-line block ×3, first 2 shown]
	v_add_f64 v[38:39], v[70:71], v[68:69]
	v_add_f64 v[32:33], v[34:35], -v[32:33]
	v_add_f64 v[20:21], v[22:23], -v[20:21]
	s_mov_b32 s15, 0xbfe77f67
	s_mov_b32 s23, 0xbfd5d0dc
	;; [unrolled: 1-line block ×6, first 2 shown]
	v_add_f64 v[30:31], v[30:31], v[48:49]
	v_add_f64 v[48:49], v[16:17], -v[50:51]
	v_add_f64 v[40:41], v[40:41], v[54:55]
	v_add_f64 v[54:55], v[44:45], -v[52:53]
	v_add_f64 v[50:51], v[50:51], v[60:61]
	v_add_f64 v[60:61], v[56:57], -v[64:65]
	v_add_f64 v[62:63], v[62:63], v[66:67]
	v_add_f64 v[44:45], v[46:47], v[44:45]
	v_add_f64 v[66:67], v[70:71], -v[68:69]
	v_add_f64 v[56:57], v[58:59], v[56:57]
	v_add_f64 v[74:75], v[72:73], v[74:75]
	v_add_f64 v[72:73], v[72:73], -v[26:27]
	v_add_f64 v[68:69], v[68:69], -v[76:77]
	v_mul_f64 v[78:79], v[78:79], s[18:19]
	v_mul_f64 v[80:81], v[80:81], s[20:21]
	v_add_f64 v[16:17], v[18:19], -v[16:17]
	v_mul_f64 v[18:19], v[82:83], s[2:3]
	v_mul_f64 v[237:238], v[84:85], s[10:11]
	;; [unrolled: 1-line block ×6, first 2 shown]
	v_add_f64 v[46:47], v[52:53], -v[46:47]
	v_mul_f64 v[227:228], v[227:228], s[20:21]
	v_add_f64 v[28:29], v[28:29], v[34:35]
	v_add_f64 v[58:59], v[64:65], -v[58:59]
	v_mul_f64 v[10:11], v[10:11], s[20:21]
	v_add_f64 v[36:37], v[36:37], v[42:43]
	v_add_f64 v[70:71], v[76:77], -v[70:71]
	v_add_f64 v[38:39], v[38:39], v[76:77]
	v_lshl_add_u32 v253, v226, 3, 0
	v_cmp_gt_u32_e64 s0, 10, v226
	v_add_f64 v[242:243], v[4:5], v[30:31]
	v_add_f64 v[4:5], v[26:27], -v[24:25]
	v_add_f64 v[26:27], v[0:1], v[40:41]
	v_mul_f64 v[24:25], v[48:49], s[18:19]
	v_mul_f64 v[0:1], v[54:55], s[10:11]
	v_mul_f64 v[48:49], v[229:230], s[2:3]
	v_add_f64 v[34:35], v[104:105], v[50:51]
	v_mul_f64 v[104:105], v[231:232], s[18:19]
	v_add_f64 v[244:245], v[108:109], v[62:63]
	v_mul_f64 v[42:43], v[60:61], s[10:11]
	v_mul_f64 v[231:232], v[233:234], s[2:3]
	v_add_f64 v[44:45], v[44:45], v[52:53]
	v_mul_f64 v[52:53], v[66:67], s[20:21]
	v_mul_f64 v[66:67], v[235:236], s[18:19]
	v_add_f64 v[56:57], v[56:57], v[64:65]
	v_add_f64 v[64:65], v[124:125], v[74:75]
	v_mul_f64 v[108:109], v[72:73], s[2:3]
	v_mul_f64 v[76:77], v[68:69], s[10:11]
	v_fma_f64 v[82:83], v[82:83], s[2:3], v[78:79]
	v_fma_f64 v[84:85], v[84:85], s[10:11], -v[80:81]
	v_fma_f64 v[80:81], v[32:33], s[16:17], v[80:81]
	v_fma_f64 v[18:19], v[8:9], s[12:13], -v[18:19]
	v_fma_f64 v[32:33], v[32:33], s[22:23], -v[237:238]
	;; [unrolled: 1-line block ×4, first 2 shown]
	v_fma_f64 v[22:23], v[14:15], s[16:17], v[22:23]
	v_fma_f64 v[14:15], v[14:15], s[22:23], -v[86:87]
	v_fma_f64 v[86:87], v[224:225], s[2:3], v[90:91]
	v_fma_f64 v[88:89], v[12:13], s[12:13], -v[239:240]
	v_fma_f64 v[12:13], v[12:13], s[14:15], -v[90:91]
	v_fma_f64 v[124:125], v[46:47], s[16:17], v[227:228]
	v_fma_f64 v[54:55], v[54:55], s[10:11], -v[227:228]
	v_add_nc_u32_e32 v224, 0x1000, v253
	v_add_nc_u32_e32 v225, 0x1800, v253
	;; [unrolled: 1-line block ×6, first 2 shown]
	v_fma_f64 v[30:31], v[30:31], s[6:7], v[242:243]
	v_fma_f64 v[40:41], v[40:41], s[6:7], v[26:27]
	;; [unrolled: 1-line block ×3, first 2 shown]
	v_fma_f64 v[0:1], v[46:47], s[22:23], -v[0:1]
	v_fma_f64 v[46:47], v[16:17], s[12:13], -v[48:49]
	v_fma_f64 v[48:49], v[50:51], s[6:7], v[34:35]
	v_fma_f64 v[16:17], v[16:17], s[14:15], -v[24:25]
	v_fma_f64 v[24:25], v[58:59], s[16:17], v[10:11]
	;; [unrolled: 2-line block ×3, first 2 shown]
	v_fma_f64 v[60:61], v[62:63], s[6:7], v[244:245]
	v_fma_f64 v[42:43], v[58:59], s[22:23], -v[42:43]
	v_fma_f64 v[58:59], v[20:21], s[12:13], -v[231:232]
	v_fma_f64 v[20:21], v[20:21], s[14:15], -v[104:105]
	v_fma_f64 v[62:63], v[70:71], s[16:17], v[52:53]
	v_fma_f64 v[72:73], v[72:73], s[2:3], v[66:67]
	v_fma_f64 v[52:53], v[68:69], s[10:11], -v[52:53]
	v_fma_f64 v[68:69], v[74:75], s[6:7], v[64:65]
	v_fma_f64 v[74:75], v[4:5], s[12:13], -v[108:109]
	v_fma_f64 v[70:71], v[70:71], s[22:23], -v[76:77]
	;; [unrolled: 1-line block ×3, first 2 shown]
	v_fma_f64 v[66:67], v[28:29], s[24:25], v[80:81]
	v_fma_f64 v[76:77], v[28:29], s[24:25], v[84:85]
	;; [unrolled: 1-line block ×6, first 2 shown]
	v_add_nc_u32_e32 v232, 0x800, v253
	v_add_nc_u32_e32 v233, 0xc00, v253
	v_fma_f64 v[36:37], v[44:45], s[24:25], v[124:125]
	v_fma_f64 v[54:55], v[44:45], s[24:25], v[54:55]
	v_add_nc_u32_e32 v231, 0x2800, v253
	v_add_nc_u32_e32 v234, 0x3000, v253
                                        ; implicit-def: $vgpr229_vgpr230
	v_add_f64 v[78:79], v[82:83], v[30:31]
	v_add_f64 v[8:9], v[8:9], v[30:31]
	;; [unrolled: 1-line block ×7, first 2 shown]
	v_fma_f64 v[44:45], v[44:45], s[24:25], v[0:1]
	v_add_f64 v[46:47], v[46:47], v[48:49]
	v_add_f64 v[16:17], v[16:17], v[48:49]
	v_fma_f64 v[24:25], v[56:57], s[24:25], v[24:25]
	v_add_f64 v[48:49], v[50:51], v[60:61]
	v_fma_f64 v[10:11], v[56:57], s[24:25], v[10:11]
	v_fma_f64 v[42:43], v[56:57], s[24:25], v[42:43]
	v_add_f64 v[20:21], v[20:21], v[60:61]
	v_add_f64 v[50:51], v[58:59], v[60:61]
	v_fma_f64 v[56:57], v[38:39], s[24:25], v[62:63]
	v_fma_f64 v[52:53], v[38:39], s[24:25], v[52:53]
	v_add_f64 v[58:59], v[72:73], v[68:69]
	v_add_f64 v[60:61], v[74:75], v[68:69]
	v_fma_f64 v[38:39], v[38:39], s[24:25], v[70:71]
	v_add_f64 v[62:63], v[4:5], v[68:69]
	v_mad_u32_u24 v0, v226, 56, 0
	s_delay_alu instid0(VALU_DEP_1)
	v_add_nc_u32_e32 v124, 0xc08, v0
	v_add_nc_u32_e32 v108, 0xc18, v0
	;; [unrolled: 1-line block ×11, first 2 shown]
	v_add_f64 v[68:69], v[66:67], v[78:79]
	v_add_f64 v[70:71], v[28:29], v[8:9]
	v_add_f64 v[72:73], v[18:19], -v[76:77]
	v_add_f64 v[74:75], v[22:23], v[30:31]
	v_add_f64 v[82:83], v[14:15], v[12:13]
	v_add_f64 v[84:85], v[40:41], -v[32:33]
	v_add_f64 v[32:33], v[32:33], v[40:41]
	v_add_f64 v[12:13], v[12:13], -v[14:15]
	;; [unrolled: 2-line block ×3, first 2 shown]
	v_add_f64 v[46:47], v[54:55], v[46:47]
	v_add_f64 v[54:55], v[44:45], v[16:17]
	v_add_f64 v[44:45], v[16:17], -v[44:45]
	v_add_f64 v[86:87], v[24:25], v[48:49]
	v_add_f64 v[88:89], v[42:43], v[20:21]
	v_add_f64 v[90:91], v[50:51], -v[10:11]
	v_add_f64 v[10:11], v[10:11], v[50:51]
	v_add_f64 v[20:21], v[20:21], -v[42:43]
	;; [unrolled: 2-line block ×3, first 2 shown]
	v_add_f64 v[52:53], v[52:53], v[60:61]
	v_add_f64 v[60:61], v[76:77], v[18:19]
	v_add_f64 v[8:9], v[8:9], -v[28:29]
	v_add_f64 v[28:29], v[78:79], -v[66:67]
	v_add_f64 v[66:67], v[38:39], v[62:63]
	v_add_f64 v[16:17], v[62:63], -v[38:39]
	v_add_f64 v[22:23], v[30:31], -v[22:23]
	;; [unrolled: 1-line block ×5, first 2 shown]
	v_add_nc_u32_e32 v1, 0x3040, v0
	ds_store_2addr_b64 v0, v[242:243], v[68:69] offset1:1
	ds_store_2addr_b64 v0, v[70:71], v[72:73] offset0:2 offset1:3
	ds_store_2addr_b64 v124, v[26:27], v[74:75] offset1:1
	ds_store_2addr_b64 v108, v[82:83], v[84:85] offset1:1
	;; [unrolled: 1-line block ×10, first 2 shown]
	ds_store_2addr_b64 v0, v[60:61], v[8:9] offset0:4 offset1:5
	ds_store_b64 v0, v[28:29] offset:48
	ds_store_2addr_b64 v5, v[66:67], v[50:51] offset1:1
	ds_store_2addr_b64 v1, v[52:53], v[16:17] offset1:1
	ds_store_b64 v0, v[22:23] offset:3128
	ds_store_b64 v0, v[30:31] offset:6208
	;; [unrolled: 1-line block ×4, first 2 shown]
	s_waitcnt lgkmcnt(0)
	s_waitcnt_vscnt null, 0x0
	s_barrier
	buffer_gl0_inv
	ds_load_b64 v[227:228], v253 offset:14880
	ds_load_2addr_b64 v[12:15], v253 offset1:55
	ds_load_2addr_b64 v[8:11], v253 offset0:110 offset1:175
	ds_load_2addr_b64 v[88:91], v232 offset0:94 offset1:149
	;; [unrolled: 1-line block ×13, first 2 shown]
	ds_load_2addr_b64 v[44:47], v231 offset1:55
	ds_load_2addr_b64 v[36:39], v234 offset0:94 offset1:149
                                        ; implicit-def: $vgpr22_vgpr23
                                        ; implicit-def: $vgpr26_vgpr27
                                        ; implicit-def: $vgpr30_vgpr31
                                        ; implicit-def: $vgpr34_vgpr35
	s_and_saveexec_b32 s1, s0
	s_cbranch_execz .LBB0_13
; %bb.12:
	v_add_nc_u32_e32 v20, 0x1a00, v253
	v_add_nc_u32_e32 v21, 0x2400, v253
	ds_load_2addr_b64 v[16:19], v236 offset0:37 offset1:212
	ds_load_2addr_b64 v[32:35], v224 offset0:3 offset1:178
	;; [unrolled: 1-line block ×5, first 2 shown]
	ds_load_b64 v[229:230], v253 offset:15320
.LBB0_13:
	s_or_b32 exec_lo, exec_lo, s1
	v_add_f64 v[170:171], v[222:223], v[170:171]
	v_add_f64 v[94:95], v[218:219], v[94:95]
	;; [unrolled: 1-line block ×11, first 2 shown]
	v_add_f64 v[92:93], v[92:93], -v[216:217]
	v_add_f64 v[178:179], v[204:205], -v[196:197]
	;; [unrolled: 1-line block ×6, first 2 shown]
	v_add_f64 v[118:119], v[190:191], v[118:119]
	v_add_f64 v[128:129], v[128:129], -v[184:185]
	v_add_f64 v[120:121], v[164:165], -v[120:121]
	v_add_f64 v[112:113], v[112:113], -v[208:209]
	v_add_f64 v[122:123], v[166:167], v[122:123]
	v_add_f64 v[152:153], v[152:153], -v[156:157]
	v_add_f64 v[132:133], v[132:133], -v[180:181]
	v_add_f64 v[154:155], v[154:155], v[158:159]
	v_add_f64 v[140:141], v[140:141], -v[192:193]
	v_add_f64 v[144:145], v[144:145], -v[172:173]
	;; [unrolled: 1-line block ×3, first 2 shown]
	v_add_f64 v[150:151], v[162:163], v[150:151]
	v_add_f64 v[136:137], v[136:137], -v[176:177]
	s_waitcnt lgkmcnt(0)
	s_barrier
	buffer_gl0_inv
	v_add_f64 v[182:183], v[94:95], v[170:171]
	v_add_f64 v[164:165], v[98:99], v[102:103]
	;; [unrolled: 1-line block ×5, first 2 shown]
	v_add_f64 v[162:163], v[170:171], -v[174:175]
	v_add_f64 v[166:167], v[174:175], -v[94:95]
	;; [unrolled: 1-line block ×11, first 2 shown]
	v_add_f64 v[96:97], v[116:117], v[96:97]
	v_add_f64 v[92:93], v[178:179], v[92:93]
	v_add_f64 v[194:195], v[152:153], -v[132:133]
	v_add_f64 v[170:171], v[154:155], -v[134:135]
	;; [unrolled: 1-line block ×5, first 2 shown]
	v_add_f64 v[128:129], v[120:121], v[128:129]
	v_add_f64 v[200:201], v[144:145], -v[136:137]
	v_add_f64 v[132:133], v[152:153], v[132:133]
	v_add_f64 v[144:145], v[148:149], v[144:145]
	v_add_f64 v[98:99], v[98:99], -v[102:103]
	v_add_f64 v[116:117], v[100:101], -v[116:117]
	;; [unrolled: 1-line block ×6, first 2 shown]
	v_add_f64 v[174:175], v[174:175], v[182:183]
	v_add_f64 v[182:183], v[114:115], -v[122:123]
	v_add_f64 v[118:119], v[118:119], v[164:165]
	v_add_f64 v[164:165], v[122:123], -v[130:131]
	;; [unrolled: 2-line block ×5, first 2 shown]
	v_mul_f64 v[162:163], v[162:163], s[18:19]
	v_mul_f64 v[202:203], v[166:167], s[2:3]
	;; [unrolled: 1-line block ×5, first 2 shown]
	v_add_f64 v[114:115], v[130:131], -v[114:115]
	v_mul_f64 v[130:131], v[188:189], s[10:11]
	v_mul_f64 v[180:181], v[180:181], s[18:19]
	;; [unrolled: 1-line block ×5, first 2 shown]
	v_add_f64 v[138:139], v[146:147], -v[138:139]
	v_mul_f64 v[194:195], v[194:195], s[20:21]
	v_mul_f64 v[208:209], v[170:171], s[2:3]
	;; [unrolled: 1-line block ×3, first 2 shown]
	v_add_f64 v[96:97], v[96:97], v[100:101]
	v_mul_f64 v[198:199], v[198:199], s[20:21]
	v_add_f64 v[92:93], v[92:93], v[168:169]
	v_add_f64 v[112:113], v[128:129], v[112:113]
	;; [unrolled: 1-line block ×5, first 2 shown]
	v_mul_f64 v[182:183], v[182:183], s[18:19]
	v_add_f64 v[2:3], v[2:3], v[118:119]
	v_mul_f64 v[206:207], v[164:165], s[2:3]
	v_add_f64 v[106:107], v[106:107], v[122:123]
	;; [unrolled: 2-line block ×3, first 2 shown]
	v_mul_f64 v[146:147], v[158:159], s[18:19]
	v_mul_f64 v[158:159], v[200:201], s[10:11]
	v_add_f64 v[126:127], v[126:127], v[160:161]
	v_mul_f64 v[100:101], v[150:151], s[2:3]
	v_fma_f64 v[136:137], v[166:167], s[2:3], v[162:163]
	v_fma_f64 v[140:141], v[94:95], s[12:13], -v[202:203]
	v_fma_f64 v[94:95], v[94:95], s[14:15], -v[162:163]
	v_fma_f64 v[144:145], v[178:179], s[16:17], v[102:103]
	v_fma_f64 v[102:103], v[176:177], s[10:11], -v[102:103]
	v_fma_f64 v[162:163], v[178:179], s[22:23], -v[172:173]
	;; [unrolled: 3-line block ×4, first 2 shown]
	v_fma_f64 v[98:99], v[98:99], s[14:15], -v[180:181]
	v_fma_f64 v[180:181], v[152:153], s[16:17], v[194:195]
	v_fma_f64 v[152:153], v[152:153], s[22:23], -v[210:211]
	v_fma_f64 v[184:185], v[134:135], s[12:13], -v[208:209]
	v_fma_f64 v[186:187], v[148:149], s[16:17], v[198:199]
	v_fma_f64 v[130:131], v[174:175], s[6:7], v[6:7]
	v_fma_f64 v[174:175], v[120:121], s[16:17], v[190:191]
	v_fma_f64 v[120:121], v[120:121], s[22:23], -v[142:143]
	v_fma_f64 v[118:119], v[118:119], s[6:7], v[2:3]
	v_fma_f64 v[164:165], v[164:165], s[2:3], v[182:183]
	v_fma_f64 v[122:123], v[122:123], s[6:7], v[106:107]
	v_fma_f64 v[142:143], v[114:115], s[12:13], -v[206:207]
	v_fma_f64 v[114:115], v[114:115], s[14:15], -v[182:183]
	;; [unrolled: 1-line block ×3, first 2 shown]
	v_fma_f64 v[170:171], v[170:171], s[2:3], v[156:157]
	v_fma_f64 v[154:155], v[154:155], s[6:7], v[110:111]
	v_fma_f64 v[134:135], v[134:135], s[14:15], -v[156:157]
	v_fma_f64 v[150:151], v[150:151], s[2:3], v[146:147]
	v_fma_f64 v[156:157], v[200:201], s[10:11], -v[198:199]
	v_fma_f64 v[148:149], v[148:149], s[22:23], -v[158:159]
	v_fma_f64 v[158:159], v[160:161], s[6:7], v[126:127]
	v_fma_f64 v[146:147], v[138:139], s[14:15], -v[146:147]
	v_fma_f64 v[100:101], v[138:139], s[12:13], -v[100:101]
	v_fma_f64 v[138:139], v[92:93], s[24:25], v[144:145]
	v_fma_f64 v[144:145], v[96:97], s[24:25], v[172:173]
	;; [unrolled: 1-line block ×7, first 2 shown]
	v_add_f64 v[116:117], v[136:137], v[130:131]
	v_add_f64 v[94:95], v[94:95], v[130:131]
	;; [unrolled: 1-line block ×3, first 2 shown]
	v_fma_f64 v[136:137], v[112:113], s[24:25], v[174:175]
	v_fma_f64 v[140:141], v[112:113], s[24:25], v[178:179]
	;; [unrolled: 1-line block ×3, first 2 shown]
	v_add_f64 v[120:121], v[166:167], v[118:119]
	v_add_f64 v[98:99], v[98:99], v[118:119]
	;; [unrolled: 1-line block ×6, first 2 shown]
	v_fma_f64 v[166:167], v[128:129], s[24:25], v[182:183]
	v_fma_f64 v[128:129], v[128:129], s[24:25], v[152:153]
	v_add_f64 v[152:153], v[170:171], v[154:155]
	v_add_f64 v[134:135], v[134:135], v[154:155]
	;; [unrolled: 1-line block ×3, first 2 shown]
	v_fma_f64 v[142:143], v[132:133], s[24:25], v[186:187]
	v_fma_f64 v[156:157], v[132:133], s[24:25], v[156:157]
	;; [unrolled: 1-line block ×3, first 2 shown]
	v_add_f64 v[148:149], v[150:151], v[158:159]
	v_add_f64 v[146:147], v[146:147], v[158:159]
	;; [unrolled: 1-line block ×3, first 2 shown]
	v_add_f64 v[150:151], v[116:117], -v[138:139]
	v_add_f64 v[158:159], v[94:95], -v[92:93]
	v_add_f64 v[168:169], v[102:103], v[130:131]
	v_add_f64 v[102:103], v[130:131], -v[102:103]
	v_add_f64 v[130:131], v[92:93], v[94:95]
	v_add_f64 v[116:117], v[138:139], v[116:117]
	v_add_f64 v[138:139], v[120:121], -v[144:145]
	v_add_f64 v[170:171], v[98:99], -v[96:97]
	v_add_f64 v[172:173], v[160:161], v[118:119]
	v_add_f64 v[118:119], v[118:119], -v[160:161]
	v_add_f64 v[96:97], v[96:97], v[98:99]
	v_add_f64 v[98:99], v[164:165], -v[136:137]
	v_add_f64 v[160:161], v[114:115], -v[112:113]
	v_add_f64 v[174:175], v[140:141], v[122:123]
	v_add_f64 v[122:123], v[122:123], -v[140:141]
	;; [unrolled: 5-line block ×4, first 2 shown]
	v_add_f64 v[92:93], v[132:133], v[146:147]
	v_add_f64 v[120:121], v[144:145], v[120:121]
	;; [unrolled: 1-line block ×5, first 2 shown]
	ds_store_2addr_b64 v0, v[6:7], v[150:151] offset1:1
	ds_store_2addr_b64 v0, v[158:159], v[168:169] offset0:2 offset1:3
	ds_store_2addr_b64 v0, v[102:103], v[130:131] offset0:4 offset1:5
	ds_store_b64 v0, v[116:117] offset:48
	ds_store_2addr_b64 v124, v[2:3], v[138:139] offset1:1
	ds_store_2addr_b64 v108, v[170:171], v[172:173] offset1:1
	;; [unrolled: 1-line block ×12, first 2 shown]
	ds_store_b64 v0, v[120:121] offset:3128
	ds_store_b64 v0, v[132:133] offset:6208
	;; [unrolled: 1-line block ×4, first 2 shown]
	s_waitcnt lgkmcnt(0)
	s_barrier
	buffer_gl0_inv
	ds_load_2addr_b64 v[4:7], v253 offset1:55
	ds_load_2addr_b64 v[0:3], v253 offset0:110 offset1:175
	ds_load_2addr_b64 v[164:167], v232 offset0:94 offset1:149
	;; [unrolled: 1-line block ×13, first 2 shown]
	ds_load_2addr_b64 v[120:123], v231 offset1:55
	ds_load_2addr_b64 v[112:115], v234 offset0:94 offset1:149
	ds_load_b64 v[231:232], v253 offset:14880
                                        ; implicit-def: $vgpr233_vgpr234
                                        ; implicit-def: $vgpr98_vgpr99
                                        ; implicit-def: $vgpr102_vgpr103
                                        ; implicit-def: $vgpr106_vgpr107
                                        ; implicit-def: $vgpr110_vgpr111
	s_and_saveexec_b32 s1, s0
	s_cbranch_execz .LBB0_15
; %bb.14:
	v_add_nc_u32_e32 v92, 0x400, v253
	v_add_nc_u32_e32 v96, 0x1000, v253
	;; [unrolled: 1-line block ×5, first 2 shown]
	ds_load_2addr_b64 v[92:95], v92 offset0:37 offset1:212
	ds_load_2addr_b64 v[108:111], v96 offset0:3 offset1:178
	;; [unrolled: 1-line block ×5, first 2 shown]
	ds_load_b64 v[233:234], v253 offset:15320
.LBB0_15:
	s_or_b32 exec_lo, exec_lo, s1
	v_and_b32_e32 v168, 0xff, v226
	s_mov_b32 s20, 0x8eee2c13
	s_mov_b32 s21, 0xbfed1bb4
	;; [unrolled: 1-line block ×4, first 2 shown]
	v_mul_lo_u16 v168, v168, 37
	s_mov_b32 s14, 0xbb3a28a1
	s_mov_b32 s15, 0xbfe82f19
	;; [unrolled: 1-line block ×4, first 2 shown]
	v_lshrrev_b16 v168, 8, v168
	s_mov_b32 s16, 0x43842ef
	s_mov_b32 s17, 0xbfefac9e
	;; [unrolled: 1-line block ×4, first 2 shown]
	v_sub_nc_u16 v169, v226, v168
	s_mov_b32 s13, 0xbfc2375f
	s_mov_b32 s19, 0xbfd207e7
	;; [unrolled: 1-line block ×4, first 2 shown]
	v_lshrrev_b16 v169, 1, v169
	s_mov_b32 s10, 0x9bcd5057
	s_mov_b32 s11, 0xbfeeb42a
	;; [unrolled: 1-line block ×4, first 2 shown]
	v_and_b32_e32 v169, 0x7f, v169
	s_mov_b32 s29, 0x3fefac9e
	s_mov_b32 s28, s16
	;; [unrolled: 1-line block ×4, first 2 shown]
	v_add_nc_u16 v168, v169, v168
	s_mov_b32 s22, 0x8764f0ba
	s_mov_b32 s23, 0x3feaeb8c
	;; [unrolled: 1-line block ×4, first 2 shown]
	v_lshrrev_b16 v224, 2, v168
	s_delay_alu instid0(VALU_DEP_1) | instskip(NEXT) | instid1(VALU_DEP_1)
	v_mul_lo_u16 v168, v224, 7
	v_sub_nc_u16 v168, v226, v168
	s_delay_alu instid0(VALU_DEP_1) | instskip(NEXT) | instid1(VALU_DEP_1)
	v_and_b32_e32 v252, 0xff, v168
	v_mul_u32_u24_e32 v168, 10, v252
	s_delay_alu instid0(VALU_DEP_1)
	v_lshlrev_b32_e32 v178, 4, v168
	s_clause 0x1
	global_load_b128 v[168:171], v178, s[4:5] offset:16
	global_load_b128 v[240:243], v178, s[4:5]
	s_waitcnt vmcnt(1) lgkmcnt(14)
	v_mul_f64 v[172:173], v[164:165], v[170:171]
	s_delay_alu instid0(VALU_DEP_1) | instskip(SKIP_1) | instid1(VALU_DEP_1)
	v_fma_f64 v[202:203], v[88:89], v[168:169], -v[172:173]
	v_mul_f64 v[88:89], v[88:89], v[170:171]
	v_fma_f64 v[254:255], v[164:165], v[168:169], v[88:89]
	v_add_nc_u32_e32 v164, 55, v226
	s_delay_alu instid0(VALU_DEP_1) | instskip(NEXT) | instid1(VALU_DEP_1)
	v_and_b32_e32 v88, 0xff, v164
	v_mul_lo_u16 v88, v88, 37
	s_delay_alu instid0(VALU_DEP_1) | instskip(NEXT) | instid1(VALU_DEP_1)
	v_lshrrev_b16 v88, 8, v88
	v_sub_nc_u16 v89, v164, v88
	s_delay_alu instid0(VALU_DEP_1) | instskip(NEXT) | instid1(VALU_DEP_1)
	v_lshrrev_b16 v89, 1, v89
	v_and_b32_e32 v89, 0x7f, v89
	s_delay_alu instid0(VALU_DEP_1) | instskip(NEXT) | instid1(VALU_DEP_1)
	v_add_nc_u16 v88, v89, v88
	v_lshrrev_b16 v238, 2, v88
	s_delay_alu instid0(VALU_DEP_1) | instskip(NEXT) | instid1(VALU_DEP_1)
	v_mul_lo_u16 v88, v238, 7
	v_sub_nc_u16 v88, v164, v88
	s_delay_alu instid0(VALU_DEP_1) | instskip(NEXT) | instid1(VALU_DEP_1)
	v_and_b32_e32 v239, 0xff, v88
	v_mul_u32_u24_e32 v88, 10, v239
	s_delay_alu instid0(VALU_DEP_1)
	v_lshlrev_b32_e32 v164, 4, v88
	s_clause 0x1
	global_load_b128 v[172:175], v164, s[4:5] offset:16
	global_load_b128 v[179:182], v164, s[4:5]
	s_waitcnt vmcnt(1)
	v_mul_f64 v[88:89], v[166:167], v[174:175]
	s_delay_alu instid0(VALU_DEP_1) | instskip(SKIP_1) | instid1(VALU_DEP_1)
	v_fma_f64 v[170:171], v[90:91], v[172:173], -v[88:89]
	v_mul_f64 v[88:89], v[90:91], v[174:175]
	v_fma_f64 v[168:169], v[166:167], v[172:173], v[88:89]
	s_clause 0x1
	global_load_b128 v[88:91], v178, s[4:5] offset:48
	global_load_b128 v[183:186], v178, s[4:5] offset:32
	s_waitcnt vmcnt(1) lgkmcnt(12)
	v_mul_f64 v[166:167], v[160:161], v[90:91]
	s_delay_alu instid0(VALU_DEP_1) | instskip(SKIP_1) | instid1(VALU_DEP_1)
	v_fma_f64 v[204:205], v[84:85], v[88:89], -v[166:167]
	v_mul_f64 v[84:85], v[84:85], v[90:91]
	v_fma_f64 v[174:175], v[160:161], v[88:89], v[84:85]
	s_clause 0x1
	global_load_b128 v[88:91], v164, s[4:5] offset:48
	global_load_b128 v[190:193], v164, s[4:5] offset:32
	s_waitcnt vmcnt(1)
	v_mul_f64 v[84:85], v[162:163], v[90:91]
	s_delay_alu instid0(VALU_DEP_1) | instskip(SKIP_1) | instid1(VALU_DEP_1)
	v_fma_f64 v[165:166], v[86:87], v[88:89], -v[84:85]
	v_mul_f64 v[84:85], v[86:87], v[90:91]
	v_fma_f64 v[160:161], v[162:163], v[88:89], v[84:85]
	s_clause 0x1
	global_load_b128 v[84:87], v178, s[4:5] offset:80
	global_load_b128 v[88:91], v178, s[4:5] offset:64
	s_waitcnt vmcnt(1) lgkmcnt(10)
	v_mul_f64 v[162:163], v[156:157], v[86:87]
	s_delay_alu instid0(VALU_DEP_1) | instskip(SKIP_1) | instid1(VALU_DEP_1)
	v_fma_f64 v[206:207], v[80:81], v[84:85], -v[162:163]
	v_mul_f64 v[80:81], v[80:81], v[86:87]
	v_fma_f64 v[176:177], v[156:157], v[84:85], v[80:81]
	s_clause 0x1
	global_load_b128 v[84:87], v164, s[4:5] offset:80
	global_load_b128 v[196:199], v164, s[4:5] offset:64
	;; [unrolled: 18-line block ×4, first 2 shown]
	s_waitcnt vmcnt(1)
	v_mul_f64 v[72:73], v[150:151], v[78:79]
	s_delay_alu instid0(VALU_DEP_1) | instskip(SKIP_1) | instid1(VALU_DEP_1)
	v_fma_f64 v[218:219], v[74:75], v[76:77], -v[72:73]
	v_mul_f64 v[72:73], v[74:75], v[78:79]
	v_fma_f64 v[172:173], v[150:151], v[76:77], v[72:73]
	s_waitcnt lgkmcnt(5)
	v_mul_f64 v[72:73], v[144:145], v[181:182]
	s_delay_alu instid0(VALU_DEP_1) | instskip(SKIP_2) | instid1(VALU_DEP_2)
	v_fma_f64 v[220:221], v[68:69], v[179:180], -v[72:73]
	v_mul_f64 v[68:69], v[68:69], v[181:182]
	v_add_nc_u32_e32 v72, 0x6e, v226
	v_fma_f64 v[216:217], v[144:145], v[179:180], v[68:69]
	s_delay_alu instid0(VALU_DEP_2) | instskip(SKIP_3) | instid1(VALU_DEP_1)
	v_dual_mov_b32 v179, v163 :: v_dual_and_b32 v68, 0xff, v72
	v_mov_b32_e32 v178, v162
	scratch_store_b32 off, v68, off offset:8 ; 4-byte Folded Spill
	v_mul_lo_u16 v68, v68, 37
	v_lshrrev_b16 v68, 8, v68
	s_delay_alu instid0(VALU_DEP_1) | instskip(NEXT) | instid1(VALU_DEP_1)
	v_sub_nc_u16 v69, v72, v68
	v_lshrrev_b16 v69, 1, v69
	s_delay_alu instid0(VALU_DEP_1) | instskip(NEXT) | instid1(VALU_DEP_1)
	v_and_b32_e32 v69, 0x7f, v69
	v_add_nc_u16 v68, v69, v68
	s_delay_alu instid0(VALU_DEP_1) | instskip(NEXT) | instid1(VALU_DEP_1)
	v_lshrrev_b16 v237, 2, v68
	v_mul_lo_u16 v68, v237, 7
	s_delay_alu instid0(VALU_DEP_1) | instskip(NEXT) | instid1(VALU_DEP_1)
	v_sub_nc_u16 v68, v72, v68
	v_and_b32_e32 v225, 0xff, v68
	s_delay_alu instid0(VALU_DEP_1) | instskip(NEXT) | instid1(VALU_DEP_1)
	v_mul_u32_u24_e32 v68, 10, v225
	v_lshlrev_b32_e32 v144, 4, v68
	s_clause 0x1
	global_load_b128 v[72:75], v144, s[4:5]
	global_load_b128 v[76:79], v144, s[4:5] offset:16
	s_waitcnt vmcnt(1)
	v_mul_f64 v[68:69], v[146:147], v[74:75]
	s_delay_alu instid0(VALU_DEP_1) | instskip(SKIP_1) | instid1(VALU_DEP_1)
	v_fma_f64 v[214:215], v[70:71], v[72:73], -v[68:69]
	v_mul_f64 v[68:69], v[70:71], v[74:75]
	v_fma_f64 v[212:213], v[146:147], v[72:73], v[68:69]
	v_mul_f64 v[68:69], v[142:143], v[185:186]
	s_delay_alu instid0(VALU_DEP_1) | instskip(SKIP_1) | instid1(VALU_DEP_1)
	v_fma_f64 v[210:211], v[66:67], v[183:184], -v[68:69]
	v_mul_f64 v[66:67], v[66:67], v[185:186]
	v_fma_f64 v[188:189], v[142:143], v[183:184], v[66:67]
	s_waitcnt vmcnt(0)
	v_mul_f64 v[66:67], v[140:141], v[78:79]
	v_dual_mov_b32 v185, v149 :: v_dual_mov_b32 v184, v148
	v_dual_mov_b32 v183, v177 :: v_dual_mov_b32 v182, v176
	s_delay_alu instid0(VALU_DEP_3) | instskip(SKIP_1) | instid1(VALU_DEP_1)
	v_fma_f64 v[142:143], v[64:65], v[76:77], -v[66:67]
	v_mul_f64 v[64:65], v[64:65], v[78:79]
	v_fma_f64 v[74:75], v[140:141], v[76:77], v[64:65]
	s_waitcnt lgkmcnt(4)
	v_mul_f64 v[64:65], v[136:137], v[192:193]
	s_delay_alu instid0(VALU_DEP_1) | instskip(SKIP_4) | instid1(VALU_DEP_1)
	v_fma_f64 v[145:146], v[60:61], v[190:191], -v[64:65]
	s_clause 0x1
	global_load_b128 v[64:67], v144, s[4:5] offset:32
	global_load_b128 v[68:71], v144, s[4:5] offset:48
	v_mul_f64 v[60:61], v[60:61], v[192:193]
	v_fma_f64 v[140:141], v[136:137], v[190:191], v[60:61]
	v_dual_mov_b32 v136, v235 :: v_dual_mov_b32 v137, v236
	s_waitcnt vmcnt(1)
	v_mul_f64 v[60:61], v[138:139], v[66:67]
	s_delay_alu instid0(VALU_DEP_1) | instskip(SKIP_1) | instid1(VALU_DEP_1)
	v_fma_f64 v[78:79], v[62:63], v[64:65], -v[60:61]
	v_mul_f64 v[60:61], v[62:63], v[66:67]
	v_fma_f64 v[76:77], v[138:139], v[64:65], v[60:61]
	v_mul_f64 v[60:61], v[134:135], v[90:91]
	s_delay_alu instid0(VALU_DEP_1) | instskip(SKIP_1) | instid1(VALU_DEP_1)
	v_fma_f64 v[60:61], v[58:59], v[88:89], -v[60:61]
	v_mul_f64 v[58:59], v[58:59], v[90:91]
	v_fma_f64 v[194:195], v[134:135], v[88:89], v[58:59]
	s_waitcnt vmcnt(0)
	v_mul_f64 v[58:59], v[132:133], v[70:71]
	s_delay_alu instid0(VALU_DEP_1) | instskip(SKIP_1) | instid1(VALU_DEP_1)
	v_fma_f64 v[134:135], v[56:57], v[68:69], -v[58:59]
	v_mul_f64 v[56:57], v[56:57], v[70:71]
	v_fma_f64 v[90:91], v[132:133], v[68:69], v[56:57]
	s_waitcnt lgkmcnt(3)
	v_mul_f64 v[56:57], v[128:129], v[198:199]
	s_delay_alu instid0(VALU_DEP_1) | instskip(SKIP_4) | instid1(VALU_DEP_1)
	v_fma_f64 v[150:151], v[52:53], v[196:197], -v[56:57]
	s_clause 0x1
	global_load_b128 v[56:59], v144, s[4:5] offset:64
	global_load_b128 v[62:65], v144, s[4:5] offset:80
	v_mul_f64 v[52:53], v[52:53], v[198:199]
	v_fma_f64 v[138:139], v[128:129], v[196:197], v[52:53]
	s_waitcnt vmcnt(1)
	v_mul_f64 v[52:53], v[130:131], v[58:59]
	s_delay_alu instid0(VALU_DEP_1) | instskip(SKIP_1) | instid1(VALU_DEP_1)
	v_fma_f64 v[128:129], v[54:55], v[56:57], -v[52:53]
	v_mul_f64 v[52:53], v[54:55], v[58:59]
	v_fma_f64 v[88:89], v[130:131], v[56:57], v[52:53]
	v_mul_f64 v[52:53], v[126:127], v[86:87]
	s_delay_alu instid0(VALU_DEP_1) | instskip(SKIP_1) | instid1(VALU_DEP_1)
	v_fma_f64 v[52:53], v[50:51], v[84:85], -v[52:53]
	v_mul_f64 v[50:51], v[50:51], v[86:87]
	v_fma_f64 v[196:197], v[126:127], v[84:85], v[50:51]
	s_waitcnt vmcnt(0)
	v_mul_f64 v[50:51], v[124:125], v[64:65]
	v_dual_mov_b32 v126, v174 :: v_dual_mov_b32 v127, v175
	s_delay_alu instid0(VALU_DEP_2) | instskip(SKIP_1) | instid1(VALU_DEP_1)
	v_fma_f64 v[86:87], v[48:49], v[62:63], -v[50:51]
	v_mul_f64 v[48:49], v[48:49], v[64:65]
	v_fma_f64 v[84:85], v[124:125], v[62:63], v[48:49]
	s_waitcnt lgkmcnt(2)
	v_mul_f64 v[48:49], v[120:121], v[246:247]
	s_delay_alu instid0(VALU_DEP_1) | instskip(SKIP_4) | instid1(VALU_DEP_1)
	v_fma_f64 v[192:193], v[44:45], v[244:245], -v[48:49]
	s_clause 0x1
	global_load_b128 v[48:51], v144, s[4:5] offset:96
	global_load_b128 v[54:57], v144, s[4:5] offset:112
	v_mul_f64 v[44:45], v[44:45], v[246:247]
	v_fma_f64 v[130:131], v[120:121], v[244:245], v[44:45]
	s_waitcnt vmcnt(1)
	v_mul_f64 v[44:45], v[122:123], v[50:51]
	s_delay_alu instid0(VALU_DEP_1) | instskip(SKIP_1) | instid1(VALU_DEP_1)
	v_fma_f64 v[124:125], v[46:47], v[48:49], -v[44:45]
	v_mul_f64 v[44:45], v[46:47], v[50:51]
	v_fma_f64 v[120:121], v[122:123], v[48:49], v[44:45]
	v_mul_f64 v[44:45], v[118:119], v[82:83]
	v_dual_mov_b32 v122, v158 :: v_dual_mov_b32 v123, v159
	s_delay_alu instid0(VALU_DEP_2) | instskip(SKIP_1) | instid1(VALU_DEP_1)
	v_fma_f64 v[44:45], v[42:43], v[80:81], -v[44:45]
	v_mul_f64 v[42:43], v[42:43], v[82:83]
	v_fma_f64 v[200:201], v[118:119], v[80:81], v[42:43]
	s_waitcnt vmcnt(0)
	v_mul_f64 v[42:43], v[116:117], v[56:57]
	s_delay_alu instid0(VALU_DEP_1) | instskip(SKIP_1) | instid1(VALU_DEP_2)
	v_fma_f64 v[118:119], v[40:41], v[54:55], -v[42:43]
	v_mul_f64 v[40:41], v[40:41], v[56:57]
	v_mov_b32_e32 v155, v119
	s_delay_alu instid0(VALU_DEP_2) | instskip(SKIP_3) | instid1(VALU_DEP_2)
	v_fma_f64 v[80:81], v[116:117], v[54:55], v[40:41]
	s_waitcnt lgkmcnt(1)
	v_mul_f64 v[40:41], v[112:113], v[250:251]
	v_mov_b32_e32 v154, v118
	v_fma_f64 v[198:199], v[36:37], v[248:249], -v[40:41]
	s_clause 0x1
	global_load_b128 v[40:43], v144, s[4:5] offset:128
	global_load_b128 v[46:49], v144, s[4:5] offset:144
	v_mul_f64 v[36:37], v[36:37], v[250:251]
	s_delay_alu instid0(VALU_DEP_1) | instskip(SKIP_2) | instid1(VALU_DEP_1)
	v_fma_f64 v[190:191], v[112:113], v[248:249], v[36:37]
	s_waitcnt vmcnt(1)
	v_mul_f64 v[36:37], v[114:115], v[42:43]
	v_fma_f64 v[112:113], v[38:39], v[40:41], -v[36:37]
	v_mul_f64 v[36:37], v[38:39], v[42:43]
	v_add_nc_u32_e32 v38, 0xa5, v226
	s_delay_alu instid0(VALU_DEP_2) | instskip(NEXT) | instid1(VALU_DEP_2)
	v_fma_f64 v[82:83], v[114:115], v[40:41], v[36:37]
	v_and_b32_e32 v36, 0xff, v38
	scratch_store_b32 off, v36, off offset:12 ; 4-byte Folded Spill
	v_mul_lo_u16 v36, v36, 37
	s_delay_alu instid0(VALU_DEP_1) | instskip(NEXT) | instid1(VALU_DEP_1)
	v_lshrrev_b16 v36, 8, v36
	v_sub_nc_u16 v37, v38, v36
	s_delay_alu instid0(VALU_DEP_1) | instskip(NEXT) | instid1(VALU_DEP_1)
	v_lshrrev_b16 v37, 1, v37
	v_and_b32_e32 v37, 0x7f, v37
	s_delay_alu instid0(VALU_DEP_1) | instskip(NEXT) | instid1(VALU_DEP_1)
	v_add_nc_u16 v36, v37, v36
	v_lshrrev_b16 v68, 2, v36
	s_delay_alu instid0(VALU_DEP_1) | instskip(NEXT) | instid1(VALU_DEP_1)
	v_mul_lo_u16 v36, v68, 7
	v_sub_nc_u16 v36, v38, v36
	s_delay_alu instid0(VALU_DEP_1) | instskip(NEXT) | instid1(VALU_DEP_1)
	v_and_b32_e32 v69, 0xff, v36
	v_mul_u32_u24_e32 v36, 10, v69
	s_delay_alu instid0(VALU_DEP_1)
	v_lshlrev_b32_e32 v54, 4, v36
	s_clause 0x1
	global_load_b128 v[36:39], v54, s[4:5]
	global_load_b128 v[40:43], v54, s[4:5] offset:16
	s_waitcnt vmcnt(1)
	v_mul_f64 v[50:51], v[94:95], v[38:39]
	s_delay_alu instid0(VALU_DEP_1) | instskip(SKIP_1) | instid1(VALU_DEP_1)
	v_fma_f64 v[50:51], v[18:19], v[36:37], -v[50:51]
	v_mul_f64 v[18:19], v[18:19], v[38:39]
	v_fma_f64 v[18:19], v[94:95], v[36:37], v[18:19]
	scratch_store_b64 off, v[18:19], off offset:172 ; 8-byte Folded Spill
	s_waitcnt vmcnt(0)
	v_mul_f64 v[18:19], v[108:109], v[42:43]
	s_delay_alu instid0(VALU_DEP_1) | instskip(SKIP_2) | instid1(VALU_DEP_1)
	v_fma_f64 v[18:19], v[32:33], v[40:41], -v[18:19]
	scratch_store_b64 off, v[18:19], off offset:148 ; 8-byte Folded Spill
	v_mul_f64 v[18:19], v[32:33], v[42:43]
	v_fma_f64 v[18:19], v[108:109], v[40:41], v[18:19]
	s_clause 0x1
	scratch_store_b64 off, v[50:51], off offset:164
	scratch_store_b64 off, v[18:19], off offset:124
	s_clause 0x1
	global_load_b128 v[36:39], v54, s[4:5] offset:32
	global_load_b128 v[40:43], v54, s[4:5] offset:48
	s_waitcnt vmcnt(1)
	v_mul_f64 v[18:19], v[110:111], v[38:39]
	s_delay_alu instid0(VALU_DEP_1) | instskip(SKIP_2) | instid1(VALU_DEP_1)
	v_fma_f64 v[18:19], v[34:35], v[36:37], -v[18:19]
	scratch_store_b64 off, v[18:19], off offset:132 ; 8-byte Folded Spill
	v_mul_f64 v[18:19], v[34:35], v[38:39]
	v_fma_f64 v[18:19], v[110:111], v[36:37], v[18:19]
	scratch_store_b64 off, v[18:19], off offset:116 ; 8-byte Folded Spill
	s_waitcnt vmcnt(0)
	v_mul_f64 v[18:19], v[104:105], v[42:43]
	s_delay_alu instid0(VALU_DEP_1) | instskip(SKIP_2) | instid1(VALU_DEP_1)
	v_fma_f64 v[18:19], v[28:29], v[40:41], -v[18:19]
	scratch_store_b64 off, v[18:19], off offset:100 ; 8-byte Folded Spill
	v_mul_f64 v[18:19], v[28:29], v[42:43]
	v_fma_f64 v[18:19], v[104:105], v[40:41], v[18:19]
	scratch_store_b64 off, v[18:19], off offset:92 ; 8-byte Folded Spill
	s_clause 0x1
	global_load_b128 v[32:35], v54, s[4:5] offset:64
	global_load_b128 v[36:39], v54, s[4:5] offset:80
	s_waitcnt vmcnt(1)
	v_mul_f64 v[18:19], v[106:107], v[34:35]
	s_delay_alu instid0(VALU_DEP_1) | instskip(SKIP_2) | instid1(VALU_DEP_1)
	v_fma_f64 v[18:19], v[30:31], v[32:33], -v[18:19]
	scratch_store_b64 off, v[18:19], off offset:76 ; 8-byte Folded Spill
	v_mul_f64 v[18:19], v[30:31], v[34:35]
	v_fma_f64 v[18:19], v[106:107], v[32:33], v[18:19]
	scratch_store_b64 off, v[18:19], off offset:52 ; 8-byte Folded Spill
	s_waitcnt vmcnt(0)
	v_mul_f64 v[18:19], v[100:101], v[38:39]
	s_delay_alu instid0(VALU_DEP_1) | instskip(SKIP_2) | instid1(VALU_DEP_1)
	v_fma_f64 v[18:19], v[24:25], v[36:37], -v[18:19]
	scratch_store_b64 off, v[18:19], off offset:84 ; 8-byte Folded Spill
	v_mul_f64 v[18:19], v[24:25], v[38:39]
	v_fma_f64 v[18:19], v[100:101], v[36:37], v[18:19]
	scratch_store_b64 off, v[18:19], off offset:60 ; 8-byte Folded Spill
	s_clause 0x1
	global_load_b128 v[28:31], v54, s[4:5] offset:96
	global_load_b128 v[32:35], v54, s[4:5] offset:112
	s_waitcnt vmcnt(1)
	v_mul_f64 v[18:19], v[102:103], v[30:31]
	s_delay_alu instid0(VALU_DEP_1) | instskip(SKIP_2) | instid1(VALU_DEP_1)
	v_fma_f64 v[18:19], v[26:27], v[28:29], -v[18:19]
	scratch_store_b64 off, v[18:19], off offset:108 ; 8-byte Folded Spill
	v_mul_f64 v[18:19], v[26:27], v[30:31]
	v_fma_f64 v[18:19], v[102:103], v[28:29], v[18:19]
	v_dual_mov_b32 v102, v165 :: v_dual_mov_b32 v103, v166
	scratch_store_b64 off, v[18:19], off offset:68 ; 8-byte Folded Spill
	s_waitcnt vmcnt(0)
	v_mul_f64 v[18:19], v[96:97], v[34:35]
	s_delay_alu instid0(VALU_DEP_1) | instskip(SKIP_2) | instid1(VALU_DEP_1)
	v_fma_f64 v[18:19], v[20:21], v[32:33], -v[18:19]
	scratch_store_b64 off, v[18:19], off offset:140 ; 8-byte Folded Spill
	v_mul_f64 v[18:19], v[20:21], v[34:35]
	v_fma_f64 v[18:19], v[96:97], v[32:33], v[18:19]
	scratch_store_b64 off, v[18:19], off offset:44 ; 8-byte Folded Spill
	s_clause 0x1
	global_load_b128 v[18:21], v54, s[4:5] offset:128
	global_load_b128 v[24:27], v54, s[4:5] offset:144
	s_waitcnt vmcnt(1)
	v_mul_f64 v[28:29], v[98:99], v[20:21]
	v_mul_f64 v[20:21], v[22:23], v[20:21]
	s_delay_alu instid0(VALU_DEP_2) | instskip(NEXT) | instid1(VALU_DEP_2)
	v_fma_f64 v[28:29], v[22:23], v[18:19], -v[28:29]
	v_fma_f64 v[18:19], v[98:99], v[18:19], v[20:21]
	v_mul_f64 v[20:21], v[227:228], v[48:49]
	s_waitcnt lgkmcnt(0)
	s_delay_alu instid0(VALU_DEP_1) | instskip(SKIP_2) | instid1(VALU_DEP_1)
	v_fma_f64 v[186:187], v[231:232], v[46:47], v[20:21]
	s_waitcnt vmcnt(0)
	v_mul_f64 v[20:21], v[233:234], v[26:27]
	v_fma_f64 v[20:21], v[229:230], v[24:25], -v[20:21]
	scratch_store_b64 off, v[20:21], off offset:180 ; 8-byte Folded Spill
	v_mul_f64 v[20:21], v[229:230], v[26:27]
	v_add_f64 v[26:27], v[254:255], -v[200:201]
	s_delay_alu instid0(VALU_DEP_2)
	v_fma_f64 v[20:21], v[233:234], v[24:25], v[20:21]
	s_clause 0x1
	scratch_store_b64 off, v[28:29], off offset:156
	scratch_store_b64 off, v[18:19], off offset:36
	v_mul_f64 v[32:33], v[26:27], s[14:15]
	v_mul_f64 v[38:39], v[26:27], s[24:25]
	;; [unrolled: 1-line block ×3, first 2 shown]
	scratch_store_b64 off, v[20:21], off offset:28 ; 8-byte Folded Spill
	v_mul_f64 v[20:21], v[10:11], v[242:243]
	s_waitcnt_vscnt null, 0x0
	s_barrier
	buffer_gl0_inv
	v_fma_f64 v[18:19], v[227:228], v[46:47], -v[18:19]
	v_mul_f64 v[227:228], v[26:27], s[34:35]
	scratch_store_b64 off, v[168:169], off offset:188 ; 8-byte Folded Spill
	v_fma_f64 v[20:21], v[2:3], v[240:241], v[20:21]
	v_mul_f64 v[2:3], v[2:3], v[242:243]
	s_delay_alu instid0(VALU_DEP_2) | instskip(NEXT) | instid1(VALU_DEP_2)
	v_add_f64 v[24:25], v[20:21], -v[148:149]
	v_fma_f64 v[2:3], v[10:11], v[240:241], -v[2:3]
	v_dual_mov_b32 v149, v146 :: v_dual_mov_b32 v148, v145
	s_delay_alu instid0(VALU_DEP_3) | instskip(NEXT) | instid1(VALU_DEP_3)
	v_mul_f64 v[28:29], v[24:25], s[20:21]
	v_add_f64 v[10:11], v[2:3], v[222:223]
	s_delay_alu instid0(VALU_DEP_1) | instskip(SKIP_1) | instid1(VALU_DEP_2)
	v_fma_f64 v[22:23], v[10:11], s[2:3], -v[28:29]
	v_fma_f64 v[28:29], v[10:11], s[2:3], v[28:29]
	v_add_f64 v[30:31], v[12:13], v[22:23]
	v_add_f64 v[22:23], v[202:203], v[44:45]
	s_delay_alu instid0(VALU_DEP_3) | instskip(NEXT) | instid1(VALU_DEP_2)
	v_add_f64 v[28:29], v[12:13], v[28:29]
	v_fma_f64 v[34:35], v[22:23], s[6:7], -v[32:33]
	v_fma_f64 v[36:37], v[22:23], s[10:11], -v[38:39]
	v_fma_f64 v[32:33], v[22:23], s[6:7], v[32:33]
	v_fma_f64 v[229:230], v[22:23], s[22:23], -v[227:228]
	s_delay_alu instid0(VALU_DEP_4) | instskip(SKIP_1) | instid1(VALU_DEP_4)
	v_add_f64 v[40:41], v[34:35], v[30:31]
	v_mul_f64 v[34:35], v[24:25], s[16:17]
	v_add_f64 v[28:29], v[32:33], v[28:29]
	s_delay_alu instid0(VALU_DEP_2) | instskip(SKIP_2) | instid1(VALU_DEP_3)
	v_fma_f64 v[30:31], v[10:11], s[12:13], -v[34:35]
	v_fma_f64 v[32:33], v[10:11], s[12:13], v[34:35]
	v_fma_f64 v[34:35], v[22:23], s[10:11], v[38:39]
	v_add_f64 v[30:31], v[12:13], v[30:31]
	s_delay_alu instid0(VALU_DEP_3) | instskip(NEXT) | instid1(VALU_DEP_2)
	v_add_f64 v[32:33], v[12:13], v[32:33]
	v_add_f64 v[46:47], v[36:37], v[30:31]
	v_add_f64 v[36:37], v[188:189], -v[235:236]
	v_add_f64 v[30:31], v[210:211], v[208:209]
	s_delay_alu instid0(VALU_DEP_4) | instskip(NEXT) | instid1(VALU_DEP_3)
	v_add_f64 v[32:33], v[34:35], v[32:33]
	v_mul_f64 v[42:43], v[36:37], s[24:25]
	s_delay_alu instid0(VALU_DEP_1) | instskip(SKIP_1) | instid1(VALU_DEP_2)
	v_fma_f64 v[48:49], v[30:31], s[10:11], -v[42:43]
	v_fma_f64 v[34:35], v[30:31], s[10:11], v[42:43]
	v_add_f64 v[50:51], v[48:49], v[40:41]
	v_mul_f64 v[48:49], v[36:37], s[26:27]
	s_delay_alu instid0(VALU_DEP_3) | instskip(NEXT) | instid1(VALU_DEP_2)
	v_add_f64 v[28:29], v[34:35], v[28:29]
	v_fma_f64 v[40:41], v[30:31], s[2:3], -v[48:49]
	v_fma_f64 v[34:35], v[30:31], s[2:3], v[48:49]
	s_delay_alu instid0(VALU_DEP_2) | instskip(SKIP_2) | instid1(VALU_DEP_4)
	v_add_f64 v[56:57], v[40:41], v[46:47]
	v_add_f64 v[46:47], v[174:175], -v[196:197]
	v_add_f64 v[40:41], v[204:205], v[52:53]
	v_add_f64 v[32:33], v[34:35], v[32:33]
	v_dual_mov_b32 v175, v171 :: v_dual_mov_b32 v174, v170
	s_delay_alu instid0(VALU_DEP_4) | instskip(NEXT) | instid1(VALU_DEP_1)
	v_mul_f64 v[54:55], v[46:47], s[28:29]
	v_fma_f64 v[58:59], v[40:41], s[12:13], -v[54:55]
	v_fma_f64 v[34:35], v[40:41], s[12:13], v[54:55]
	s_delay_alu instid0(VALU_DEP_2) | instskip(SKIP_1) | instid1(VALU_DEP_3)
	v_add_f64 v[64:65], v[58:59], v[50:51]
	v_mul_f64 v[58:59], v[46:47], s[30:31]
	v_add_f64 v[28:29], v[34:35], v[28:29]
	s_delay_alu instid0(VALU_DEP_2) | instskip(SKIP_1) | instid1(VALU_DEP_2)
	v_fma_f64 v[50:51], v[40:41], s[22:23], -v[58:59]
	v_fma_f64 v[34:35], v[40:41], s[22:23], v[58:59]
	v_add_f64 v[70:71], v[50:51], v[56:57]
	v_add_f64 v[56:57], v[194:195], -v[176:177]
	v_add_f64 v[50:51], v[60:61], v[206:207]
	s_delay_alu instid0(VALU_DEP_4) | instskip(SKIP_1) | instid1(VALU_DEP_4)
	v_add_f64 v[32:33], v[34:35], v[32:33]
	v_dual_mov_b32 v177, v125 :: v_dual_mov_b32 v176, v124
	v_mul_f64 v[62:63], v[56:57], s[34:35]
	s_delay_alu instid0(VALU_DEP_1) | instskip(SKIP_1) | instid1(VALU_DEP_2)
	v_fma_f64 v[66:67], v[50:51], s[22:23], -v[62:63]
	v_fma_f64 v[34:35], v[50:51], s[22:23], v[62:63]
	v_add_f64 v[66:67], v[66:67], v[64:65]
	v_mul_f64 v[64:65], v[56:57], s[14:15]
	s_delay_alu instid0(VALU_DEP_3) | instskip(NEXT) | instid1(VALU_DEP_2)
	v_add_f64 v[28:29], v[34:35], v[28:29]
	v_fma_f64 v[72:73], v[50:51], s[6:7], -v[64:65]
	v_fma_f64 v[34:35], v[50:51], s[6:7], v[64:65]
	s_delay_alu instid0(VALU_DEP_2) | instskip(SKIP_2) | instid1(VALU_DEP_4)
	v_add_f64 v[104:105], v[72:73], v[70:71]
	v_and_b32_e32 v70, 0xffff, v224
	v_lshlrev_b32_e32 v71, 3, v252
	v_add_f64 v[32:33], v[34:35], v[32:33]
	s_delay_alu instid0(VALU_DEP_3) | instskip(NEXT) | instid1(VALU_DEP_1)
	v_mul_u32_u24_e32 v70, 0x268, v70
	v_add3_u32 v70, 0, v70, v71
	ds_store_2addr_b64 v70, v[66:67], v[104:105] offset0:14 offset1:21
	v_mul_f64 v[66:67], v[24:25], s[14:15]
	v_mul_f64 v[104:105], v[26:27], s[28:29]
	ds_store_2addr_b64 v70, v[32:33], v[28:29] offset0:56 offset1:63
	v_mul_f64 v[26:27], v[26:27], s[20:21]
	v_fma_f64 v[71:72], v[10:11], s[6:7], -v[66:67]
	v_fma_f64 v[106:107], v[22:23], s[12:13], -v[104:105]
	v_fma_f64 v[66:67], v[10:11], s[6:7], v[66:67]
	s_delay_alu instid0(VALU_DEP_4) | instskip(NEXT) | instid1(VALU_DEP_4)
	v_fma_f64 v[32:33], v[22:23], s[2:3], -v[26:27]
	v_add_f64 v[71:72], v[12:13], v[71:72]
	s_delay_alu instid0(VALU_DEP_3) | instskip(NEXT) | instid1(VALU_DEP_2)
	v_add_f64 v[66:67], v[12:13], v[66:67]
	v_add_f64 v[71:72], v[106:107], v[71:72]
	v_mul_f64 v[106:107], v[24:25], s[18:19]
	v_mul_f64 v[24:25], v[24:25], s[30:31]
	s_delay_alu instid0(VALU_DEP_2) | instskip(NEXT) | instid1(VALU_DEP_2)
	v_fma_f64 v[110:111], v[10:11], s[10:11], -v[106:107]
	v_fma_f64 v[28:29], v[10:11], s[22:23], -v[24:25]
	s_delay_alu instid0(VALU_DEP_2) | instskip(NEXT) | instid1(VALU_DEP_2)
	v_add_f64 v[110:111], v[12:13], v[110:111]
	v_add_f64 v[28:29], v[12:13], v[28:29]
	s_delay_alu instid0(VALU_DEP_2) | instskip(SKIP_1) | instid1(VALU_DEP_3)
	v_add_f64 v[110:111], v[229:230], v[110:111]
	v_mul_f64 v[229:230], v[36:37], s[30:31]
	v_add_f64 v[28:29], v[32:33], v[28:29]
	v_mul_f64 v[32:33], v[36:37], s[16:17]
	s_delay_alu instid0(VALU_DEP_3) | instskip(NEXT) | instid1(VALU_DEP_2)
	v_fma_f64 v[231:232], v[30:31], s[22:23], -v[229:230]
	v_fma_f64 v[34:35], v[30:31], s[12:13], -v[32:33]
	s_delay_alu instid0(VALU_DEP_2) | instskip(SKIP_1) | instid1(VALU_DEP_3)
	v_add_f64 v[71:72], v[231:232], v[71:72]
	v_mul_f64 v[231:232], v[36:37], s[14:15]
	v_add_f64 v[28:29], v[34:35], v[28:29]
	v_mul_f64 v[34:35], v[46:47], s[14:15]
	s_delay_alu instid0(VALU_DEP_3) | instskip(NEXT) | instid1(VALU_DEP_2)
	v_fma_f64 v[233:234], v[30:31], s[6:7], -v[231:232]
	v_fma_f64 v[36:37], v[40:41], s[6:7], -v[34:35]
	;; [unrolled: 8-line block ×3, first 2 shown]
	s_delay_alu instid0(VALU_DEP_2) | instskip(SKIP_1) | instid1(VALU_DEP_3)
	v_add_f64 v[71:72], v[235:236], v[71:72]
	v_mul_f64 v[235:236], v[46:47], s[26:27]
	v_add_f64 v[28:29], v[38:39], v[28:29]
	v_add_f64 v[38:39], v[12:13], v[2:3]
	s_delay_alu instid0(VALU_DEP_3) | instskip(NEXT) | instid1(VALU_DEP_2)
	v_fma_f64 v[240:241], v[40:41], s[2:3], -v[235:236]
	v_add_f64 v[38:39], v[38:39], v[202:203]
	s_delay_alu instid0(VALU_DEP_2) | instskip(SKIP_1) | instid1(VALU_DEP_3)
	v_add_f64 v[110:111], v[240:241], v[110:111]
	v_mul_f64 v[240:241], v[56:57], s[26:27]
	v_add_f64 v[38:39], v[38:39], v[210:211]
	s_delay_alu instid0(VALU_DEP_2) | instskip(NEXT) | instid1(VALU_DEP_2)
	v_fma_f64 v[242:243], v[50:51], s[2:3], -v[240:241]
	v_add_f64 v[38:39], v[38:39], v[204:205]
	s_delay_alu instid0(VALU_DEP_2) | instskip(SKIP_1) | instid1(VALU_DEP_3)
	v_add_f64 v[71:72], v[242:243], v[71:72]
	v_mul_f64 v[242:243], v[56:57], s[16:17]
	v_add_f64 v[38:39], v[38:39], v[60:61]
	s_delay_alu instid0(VALU_DEP_2) | instskip(NEXT) | instid1(VALU_DEP_2)
	v_fma_f64 v[244:245], v[50:51], s[12:13], -v[242:243]
	v_add_f64 v[38:39], v[38:39], v[206:207]
	s_delay_alu instid0(VALU_DEP_2) | instskip(NEXT) | instid1(VALU_DEP_2)
	v_add_f64 v[110:111], v[244:245], v[110:111]
	v_add_f64 v[38:39], v[38:39], v[52:53]
	ds_store_2addr_b64 v70, v[71:72], v[110:111] offset0:28 offset1:35
	v_fma_f64 v[71:72], v[22:23], s[12:13], v[104:105]
	v_fma_f64 v[104:105], v[22:23], s[22:23], v[227:228]
	v_add_f64 v[38:39], v[38:39], v[208:209]
	v_fma_f64 v[22:23], v[22:23], s[2:3], v[26:27]
	v_fma_f64 v[26:27], v[40:41], s[6:7], v[34:35]
	v_add_f64 v[34:35], v[168:169], -v[190:191]
	v_add_f64 v[66:67], v[71:72], v[66:67]
	v_fma_f64 v[71:72], v[10:11], s[10:11], v[106:107]
	v_fma_f64 v[10:11], v[10:11], s[22:23], v[24:25]
	v_add_f64 v[38:39], v[38:39], v[44:45]
	v_fma_f64 v[24:25], v[30:31], s[12:13], v[32:33]
	v_mul_f64 v[46:47], v[34:35], s[24:25]
	v_mul_f64 v[110:111], v[34:35], s[34:35]
	v_add_f64 v[71:72], v[12:13], v[71:72]
	v_add_f64 v[10:11], v[12:13], v[10:11]
	v_add_f64 v[12:13], v[216:217], -v[172:173]
	v_add_f64 v[38:39], v[38:39], v[222:223]
	s_delay_alu instid0(VALU_DEP_4)
	v_add_f64 v[71:72], v[104:105], v[71:72]
	v_fma_f64 v[104:105], v[30:31], s[22:23], v[229:230]
	v_add_f64 v[10:11], v[22:23], v[10:11]
	v_add_f64 v[22:23], v[220:221], v[218:219]
	ds_store_2addr_b64 v70, v[38:39], v[28:29] offset1:7
	v_fma_f64 v[28:29], v[50:51], s[10:11], v[36:37]
	v_add_f64 v[36:37], v[170:171], v[198:199]
	v_mul_f64 v[38:39], v[34:35], s[14:15]
	v_add_f64 v[66:67], v[104:105], v[66:67]
	v_fma_f64 v[104:105], v[30:31], s[6:7], v[231:232]
	v_mul_f64 v[30:31], v[12:13], s[20:21]
	v_add_f64 v[10:11], v[24:25], v[10:11]
	v_add_f64 v[24:25], v[140:141], -v[152:153]
	v_fma_f64 v[48:49], v[36:37], s[10:11], -v[46:47]
	v_fma_f64 v[227:228], v[36:37], s[22:23], -v[110:111]
	v_add_f64 v[71:72], v[104:105], v[71:72]
	v_fma_f64 v[104:105], v[40:41], s[10:11], v[233:234]
	v_fma_f64 v[32:33], v[22:23], s[2:3], -v[30:31]
	v_add_f64 v[10:11], v[26:27], v[10:11]
	v_add_f64 v[26:27], v[160:161], -v[130:131]
	s_delay_alu instid0(VALU_DEP_4)
	v_add_f64 v[66:67], v[104:105], v[66:67]
	v_fma_f64 v[104:105], v[40:41], s[2:3], v[235:236]
	v_add_f64 v[32:33], v[14:15], v[32:33]
	v_fma_f64 v[40:41], v[36:37], s[6:7], -v[38:39]
	v_mul_f64 v[58:59], v[26:27], s[28:29]
	v_add_f64 v[10:11], v[28:29], v[10:11]
	v_add_f64 v[28:29], v[138:139], -v[156:157]
	v_add_f64 v[71:72], v[104:105], v[71:72]
	v_fma_f64 v[104:105], v[50:51], s[2:3], v[240:241]
	v_add_f64 v[32:33], v[40:41], v[32:33]
	v_mul_f64 v[40:41], v[12:13], s[16:17]
	s_delay_alu instid0(VALU_DEP_3) | instskip(SKIP_1) | instid1(VALU_DEP_3)
	v_add_f64 v[66:67], v[104:105], v[66:67]
	v_fma_f64 v[104:105], v[50:51], s[12:13], v[242:243]
	v_fma_f64 v[42:43], v[22:23], s[12:13], -v[40:41]
	v_mul_f64 v[50:51], v[24:25], s[24:25]
	s_delay_alu instid0(VALU_DEP_3) | instskip(NEXT) | instid1(VALU_DEP_3)
	v_add_f64 v[71:72], v[104:105], v[71:72]
	v_add_f64 v[42:43], v[14:15], v[42:43]
	ds_store_2addr_b64 v70, v[71:72], v[66:67] offset0:42 offset1:49
	v_add_f64 v[42:43], v[48:49], v[42:43]
	v_add_f64 v[48:49], v[145:146], v[158:159]
	v_mul_f64 v[66:67], v[28:29], s[34:35]
	s_clause 0x5
	scratch_store_b64 off, v[152:153], off offset:228
	scratch_store_b64 off, v[140:141], off offset:268
	;; [unrolled: 1-line block ×6, first 2 shown]
	ds_store_b64 v70, v[10:11] offset:560
	v_and_b32_e32 v10, 0xffff, v238
	v_lshlrev_b32_e32 v11, 3, v239
	v_dual_mov_b32 v153, v135 :: v_dual_mov_b32 v152, v134
	v_mov_b32_e32 v131, v113
	s_delay_alu instid0(VALU_DEP_4) | instskip(SKIP_2) | instid1(VALU_DEP_1)
	v_mul_u32_u24_e32 v10, 0x268, v10
	v_mov_b32_e32 v130, v112
	v_fma_f64 v[54:55], v[48:49], s[10:11], -v[50:51]
	v_add_f64 v[32:33], v[54:55], v[32:33]
	v_mul_f64 v[54:55], v[24:25], s[26:27]
	s_delay_alu instid0(VALU_DEP_1) | instskip(NEXT) | instid1(VALU_DEP_1)
	v_fma_f64 v[56:57], v[48:49], s[2:3], -v[54:55]
	v_add_f64 v[42:43], v[56:57], v[42:43]
	v_add_f64 v[56:57], v[165:166], v[192:193]
	s_delay_alu instid0(VALU_DEP_1) | instskip(NEXT) | instid1(VALU_DEP_1)
	v_fma_f64 v[62:63], v[56:57], s[12:13], -v[58:59]
	v_add_f64 v[32:33], v[62:63], v[32:33]
	v_mul_f64 v[62:63], v[26:27], s[30:31]
	s_delay_alu instid0(VALU_DEP_1) | instskip(NEXT) | instid1(VALU_DEP_1)
	v_fma_f64 v[64:65], v[56:57], s[22:23], -v[62:63]
	v_add_f64 v[42:43], v[64:65], v[42:43]
	v_add_f64 v[64:65], v[150:151], v[162:163]
	s_delay_alu instid0(VALU_DEP_1) | instskip(NEXT) | instid1(VALU_DEP_1)
	v_fma_f64 v[71:72], v[64:65], s[22:23], -v[66:67]
	v_add_f64 v[32:33], v[71:72], v[32:33]
	v_mul_f64 v[72:73], v[28:29], s[14:15]
	v_add3_u32 v71, 0, v10, v11
	v_mul_f64 v[10:11], v[12:13], s[14:15]
	s_delay_alu instid0(VALU_DEP_3) | instskip(NEXT) | instid1(VALU_DEP_1)
	v_fma_f64 v[104:105], v[64:65], s[6:7], -v[72:73]
	v_add_f64 v[42:43], v[104:105], v[42:43]
	ds_store_2addr_b64 v71, v[32:33], v[42:43] offset0:14 offset1:21
	v_fma_f64 v[32:33], v[22:23], s[6:7], -v[10:11]
	v_mul_f64 v[42:43], v[34:35], s[28:29]
	v_fma_f64 v[10:11], v[22:23], s[6:7], v[10:11]
	s_delay_alu instid0(VALU_DEP_3) | instskip(NEXT) | instid1(VALU_DEP_3)
	v_add_f64 v[32:33], v[14:15], v[32:33]
	v_fma_f64 v[104:105], v[36:37], s[12:13], -v[42:43]
	s_delay_alu instid0(VALU_DEP_3) | instskip(NEXT) | instid1(VALU_DEP_2)
	v_add_f64 v[10:11], v[14:15], v[10:11]
	v_add_f64 v[32:33], v[104:105], v[32:33]
	v_mul_f64 v[104:105], v[12:13], s[18:19]
	s_delay_alu instid0(VALU_DEP_1) | instskip(NEXT) | instid1(VALU_DEP_1)
	v_fma_f64 v[106:107], v[22:23], s[10:11], -v[104:105]
	v_add_f64 v[106:107], v[14:15], v[106:107]
	s_delay_alu instid0(VALU_DEP_1) | instskip(SKIP_1) | instid1(VALU_DEP_1)
	v_add_f64 v[106:107], v[227:228], v[106:107]
	v_mul_f64 v[227:228], v[24:25], s[30:31]
	v_fma_f64 v[229:230], v[48:49], s[22:23], -v[227:228]
	s_delay_alu instid0(VALU_DEP_1) | instskip(SKIP_2) | instid1(VALU_DEP_2)
	v_add_f64 v[32:33], v[229:230], v[32:33]
	v_mul_f64 v[229:230], v[24:25], s[14:15]
	v_mul_f64 v[24:25], v[24:25], s[16:17]
	v_fma_f64 v[231:232], v[48:49], s[6:7], -v[229:230]
	s_delay_alu instid0(VALU_DEP_1) | instskip(SKIP_1) | instid1(VALU_DEP_1)
	v_add_f64 v[106:107], v[231:232], v[106:107]
	v_mul_f64 v[231:232], v[26:27], s[18:19]
	v_fma_f64 v[233:234], v[56:57], s[10:11], -v[231:232]
	s_delay_alu instid0(VALU_DEP_1) | instskip(SKIP_2) | instid1(VALU_DEP_2)
	v_add_f64 v[32:33], v[233:234], v[32:33]
	v_mul_f64 v[233:234], v[26:27], s[26:27]
	v_mul_f64 v[26:27], v[26:27], s[14:15]
	v_fma_f64 v[235:236], v[56:57], s[2:3], -v[233:234]
	;; [unrolled: 9-line block ×3, first 2 shown]
	s_delay_alu instid0(VALU_DEP_1) | instskip(SKIP_3) | instid1(VALU_DEP_2)
	v_add_f64 v[106:107], v[240:241], v[106:107]
	ds_store_2addr_b64 v71, v[32:33], v[106:107] offset0:28 offset1:35
	v_fma_f64 v[32:33], v[36:37], s[12:13], v[42:43]
	v_fma_f64 v[42:43], v[36:37], s[22:23], v[110:111]
	v_add_f64 v[10:11], v[32:33], v[10:11]
	v_fma_f64 v[32:33], v[22:23], s[10:11], v[104:105]
	s_delay_alu instid0(VALU_DEP_1) | instskip(NEXT) | instid1(VALU_DEP_1)
	v_add_f64 v[32:33], v[14:15], v[32:33]
	v_add_f64 v[32:33], v[42:43], v[32:33]
	v_fma_f64 v[42:43], v[48:49], s[22:23], v[227:228]
	s_delay_alu instid0(VALU_DEP_1) | instskip(SKIP_1) | instid1(VALU_DEP_1)
	v_add_f64 v[10:11], v[42:43], v[10:11]
	v_fma_f64 v[42:43], v[48:49], s[6:7], v[229:230]
	v_add_f64 v[32:33], v[42:43], v[32:33]
	v_fma_f64 v[42:43], v[56:57], s[10:11], v[231:232]
	s_delay_alu instid0(VALU_DEP_1) | instskip(SKIP_1) | instid1(VALU_DEP_1)
	v_add_f64 v[10:11], v[42:43], v[10:11]
	v_fma_f64 v[42:43], v[56:57], s[2:3], v[233:234]
	;; [unrolled: 5-line block ×3, first 2 shown]
	v_add_f64 v[32:33], v[42:43], v[32:33]
	ds_store_2addr_b64 v71, v[32:33], v[10:11] offset0:42 offset1:49
	v_fma_f64 v[10:11], v[22:23], s[2:3], v[30:31]
	v_fma_f64 v[30:31], v[36:37], s[6:7], v[38:39]
	;; [unrolled: 1-line block ×3, first 2 shown]
	v_add_f64 v[38:39], v[214:215], v[18:19]
	s_delay_alu instid0(VALU_DEP_4) | instskip(NEXT) | instid1(VALU_DEP_1)
	v_add_f64 v[10:11], v[14:15], v[10:11]
	v_add_f64 v[10:11], v[30:31], v[10:11]
	v_fma_f64 v[30:31], v[22:23], s[12:13], v[40:41]
	s_delay_alu instid0(VALU_DEP_1) | instskip(NEXT) | instid1(VALU_DEP_1)
	v_add_f64 v[30:31], v[14:15], v[30:31]
	v_add_f64 v[30:31], v[32:33], v[30:31]
	v_fma_f64 v[32:33], v[48:49], s[10:11], v[50:51]
	s_delay_alu instid0(VALU_DEP_1) | instskip(SKIP_1) | instid1(VALU_DEP_1)
	v_add_f64 v[10:11], v[32:33], v[10:11]
	v_fma_f64 v[32:33], v[48:49], s[2:3], v[54:55]
	v_add_f64 v[30:31], v[32:33], v[30:31]
	v_fma_f64 v[32:33], v[56:57], s[12:13], v[58:59]
	s_delay_alu instid0(VALU_DEP_1) | instskip(SKIP_1) | instid1(VALU_DEP_1)
	v_add_f64 v[10:11], v[32:33], v[10:11]
	v_fma_f64 v[32:33], v[56:57], s[22:23], v[62:63]
	;; [unrolled: 5-line block ×3, first 2 shown]
	v_add_f64 v[30:31], v[32:33], v[30:31]
	ds_store_2addr_b64 v71, v[30:31], v[10:11] offset0:56 offset1:63
	v_mul_f64 v[10:11], v[12:13], s[30:31]
	s_delay_alu instid0(VALU_DEP_1) | instskip(SKIP_2) | instid1(VALU_DEP_3)
	v_fma_f64 v[12:13], v[22:23], s[22:23], -v[10:11]
	v_fma_f64 v[10:11], v[22:23], s[22:23], v[10:11]
	v_mul_f64 v[22:23], v[34:35], s[20:21]
	v_add_f64 v[12:13], v[14:15], v[12:13]
	s_delay_alu instid0(VALU_DEP_3) | instskip(SKIP_1) | instid1(VALU_DEP_4)
	v_add_f64 v[10:11], v[14:15], v[10:11]
	v_add_f64 v[14:15], v[14:15], v[220:221]
	v_fma_f64 v[30:31], v[36:37], s[2:3], -v[22:23]
	v_fma_f64 v[22:23], v[36:37], s[2:3], v[22:23]
	s_delay_alu instid0(VALU_DEP_3) | instskip(NEXT) | instid1(VALU_DEP_3)
	v_add_f64 v[14:15], v[14:15], v[170:171]
	v_add_f64 v[12:13], v[30:31], v[12:13]
	v_fma_f64 v[30:31], v[48:49], s[12:13], -v[24:25]
	s_delay_alu instid0(VALU_DEP_4)
	v_add_f64 v[10:11], v[22:23], v[10:11]
	v_add_f64 v[22:23], v[74:75], -v[82:83]
	v_fma_f64 v[24:25], v[48:49], s[12:13], v[24:25]
	v_add_f64 v[48:49], v[142:143], v[112:113]
	v_dual_mov_b32 v171, v151 :: v_dual_mov_b32 v170, v150
	v_add_f64 v[14:15], v[14:15], v[145:146]
	v_mov_b32_e32 v147, v143
	v_add_f64 v[12:13], v[30:31], v[12:13]
	v_fma_f64 v[30:31], v[56:57], s[6:7], -v[26:27]
	v_fma_f64 v[26:27], v[56:57], s[6:7], v[26:27]
	v_add_f64 v[10:11], v[24:25], v[10:11]
	v_add_f64 v[24:25], v[76:77], -v[80:81]
	v_mov_b32_e32 v146, v142
	v_add_f64 v[14:15], v[14:15], v[165:166]
	v_dual_mov_b32 v167, v79 :: v_dual_mov_b32 v166, v78
	v_add_f64 v[12:13], v[30:31], v[12:13]
	v_fma_f64 v[30:31], v[64:65], s[10:11], -v[28:29]
	v_add_f64 v[10:11], v[26:27], v[10:11]
	v_mul_f64 v[56:57], v[24:25], s[16:17]
	v_add_f64 v[26:27], v[90:91], -v[120:121]
	v_fma_f64 v[28:29], v[64:65], s[10:11], v[28:29]
	v_add_f64 v[14:15], v[14:15], v[150:151]
	v_dual_mov_b32 v151, v87 :: v_dual_mov_b32 v150, v86
	v_add_f64 v[12:13], v[30:31], v[12:13]
	v_mul_f64 v[62:63], v[26:27], s[14:15]
	v_add_f64 v[10:11], v[28:29], v[10:11]
	v_add_f64 v[28:29], v[88:89], -v[84:85]
	v_add_f64 v[14:15], v[14:15], v[162:163]
	v_dual_mov_b32 v163, v129 :: v_dual_mov_b32 v162, v128
	s_delay_alu instid0(VALU_DEP_3) | instskip(NEXT) | instid1(VALU_DEP_3)
	v_mul_f64 v[66:67], v[28:29], s[18:19]
	v_add_f64 v[14:15], v[14:15], v[192:193]
	s_delay_alu instid0(VALU_DEP_1) | instskip(NEXT) | instid1(VALU_DEP_1)
	v_add_f64 v[14:15], v[14:15], v[158:159]
	v_add_f64 v[14:15], v[14:15], v[198:199]
	s_delay_alu instid0(VALU_DEP_1)
	v_add_f64 v[14:15], v[14:15], v[218:219]
	ds_store_2addr_b64 v71, v[14:15], v[12:13] offset1:7
	v_add_f64 v[12:13], v[212:213], -v[186:187]
	s_clause 0x5
	scratch_store_b64 off, v[74:75], off offset:236
	scratch_store_b64 off, v[82:83], off offset:204
	;; [unrolled: 1-line block ×6, first 2 shown]
	v_lshlrev_b32_e32 v91, 3, v69
	s_clause 0x1
	scratch_store_b64 off, v[88:89], off offset:292
	scratch_store_b64 off, v[84:85], off offset:276
	ds_store_b64 v71, v[10:11] offset:560
	v_and_b32_e32 v10, 0xffff, v237
	v_lshlrev_b32_e32 v11, 3, v225
	s_delay_alu instid0(VALU_DEP_2)
	v_mul_u32_u24_e32 v10, 0x268, v10
	v_mul_f64 v[14:15], v[12:13], s[30:31]
	v_mul_f64 v[30:31], v[12:13], s[20:21]
	;; [unrolled: 1-line block ×5, first 2 shown]
	v_fma_f64 v[40:41], v[38:39], s[22:23], -v[14:15]
	v_fma_f64 v[14:15], v[38:39], s[22:23], v[14:15]
	v_fma_f64 v[42:43], v[38:39], s[2:3], -v[30:31]
	v_fma_f64 v[30:31], v[38:39], s[2:3], v[30:31]
	v_fma_f64 v[46:47], v[38:39], s[12:13], -v[32:33]
	v_fma_f64 v[32:33], v[38:39], s[12:13], v[32:33]
	v_fma_f64 v[50:51], v[38:39], s[6:7], -v[34:35]
	v_fma_f64 v[34:35], v[38:39], s[6:7], v[34:35]
	v_fma_f64 v[54:55], v[38:39], s[10:11], -v[12:13]
	v_fma_f64 v[12:13], v[38:39], s[10:11], v[12:13]
	v_add_f64 v[36:37], v[8:9], v[40:41]
	v_add_f64 v[14:15], v[8:9], v[14:15]
	;; [unrolled: 1-line block ×11, first 2 shown]
	v_mul_f64 v[50:51], v[22:23], s[20:21]
	s_delay_alu instid0(VALU_DEP_2) | instskip(NEXT) | instid1(VALU_DEP_2)
	v_add_f64 v[8:9], v[8:9], v[142:143]
	v_fma_f64 v[54:55], v[48:49], s[2:3], -v[50:51]
	s_delay_alu instid0(VALU_DEP_2) | instskip(NEXT) | instid1(VALU_DEP_2)
	v_add_f64 v[8:9], v[8:9], v[78:79]
	v_add_f64 v[36:37], v[54:55], v[36:37]
	v_add_f64 v[54:55], v[78:79], v[118:119]
	s_delay_alu instid0(VALU_DEP_3) | instskip(NEXT) | instid1(VALU_DEP_2)
	v_add_f64 v[8:9], v[8:9], v[134:135]
	v_fma_f64 v[58:59], v[54:55], s[12:13], -v[56:57]
	s_delay_alu instid0(VALU_DEP_2) | instskip(NEXT) | instid1(VALU_DEP_2)
	v_add_f64 v[8:9], v[8:9], v[128:129]
	v_add_f64 v[36:37], v[58:59], v[36:37]
	v_add_f64 v[58:59], v[134:135], v[124:125]
	s_delay_alu instid0(VALU_DEP_3) | instskip(NEXT) | instid1(VALU_DEP_2)
	;; [unrolled: 7-line block ×3, first 2 shown]
	v_add_f64 v[8:9], v[8:9], v[118:119]
	v_fma_f64 v[72:73], v[64:65], s[10:11], -v[66:67]
	s_delay_alu instid0(VALU_DEP_2) | instskip(NEXT) | instid1(VALU_DEP_2)
	v_add_f64 v[8:9], v[8:9], v[112:113]
	v_add_f64 v[36:37], v[72:73], v[36:37]
	v_add3_u32 v72, 0, v10, v11
	s_delay_alu instid0(VALU_DEP_3) | instskip(SKIP_3) | instid1(VALU_DEP_2)
	v_add_f64 v[8:9], v[8:9], v[18:19]
	ds_store_2addr_b64 v72, v[8:9], v[36:37] offset1:7
	v_mul_f64 v[8:9], v[22:23], s[14:15]
	v_mul_f64 v[36:37], v[22:23], s[24:25]
	v_fma_f64 v[10:11], v[48:49], s[6:7], -v[8:9]
	v_fma_f64 v[8:9], v[48:49], s[6:7], v[8:9]
	s_delay_alu instid0(VALU_DEP_2) | instskip(NEXT) | instid1(VALU_DEP_4)
	v_add_f64 v[10:11], v[10:11], v[38:39]
	v_fma_f64 v[38:39], v[48:49], s[10:11], -v[36:37]
	s_delay_alu instid0(VALU_DEP_3) | instskip(NEXT) | instid1(VALU_DEP_2)
	v_add_f64 v[8:9], v[8:9], v[30:31]
	v_add_f64 v[38:39], v[38:39], v[40:41]
	v_mul_f64 v[40:41], v[24:25], s[24:25]
	s_delay_alu instid0(VALU_DEP_1) | instskip(NEXT) | instid1(VALU_DEP_1)
	v_fma_f64 v[104:105], v[54:55], s[10:11], -v[40:41]
	v_add_f64 v[10:11], v[104:105], v[10:11]
	v_mul_f64 v[104:105], v[24:25], s[26:27]
	s_delay_alu instid0(VALU_DEP_1) | instskip(NEXT) | instid1(VALU_DEP_1)
	v_fma_f64 v[106:107], v[54:55], s[2:3], -v[104:105]
	v_add_f64 v[38:39], v[106:107], v[38:39]
	v_mul_f64 v[106:107], v[26:27], s[28:29]
	s_delay_alu instid0(VALU_DEP_1) | instskip(NEXT) | instid1(VALU_DEP_1)
	v_fma_f64 v[110:111], v[58:59], s[12:13], -v[106:107]
	v_add_f64 v[10:11], v[110:111], v[10:11]
	v_mul_f64 v[110:111], v[26:27], s[30:31]
	s_delay_alu instid0(VALU_DEP_1) | instskip(NEXT) | instid1(VALU_DEP_1)
	v_fma_f64 v[227:228], v[58:59], s[22:23], -v[110:111]
	v_add_f64 v[38:39], v[227:228], v[38:39]
	v_mul_f64 v[227:228], v[28:29], s[34:35]
	s_delay_alu instid0(VALU_DEP_1) | instskip(NEXT) | instid1(VALU_DEP_1)
	v_fma_f64 v[229:230], v[64:65], s[22:23], -v[227:228]
	v_add_f64 v[10:11], v[229:230], v[10:11]
	v_mul_f64 v[229:230], v[28:29], s[14:15]
	s_delay_alu instid0(VALU_DEP_1) | instskip(NEXT) | instid1(VALU_DEP_1)
	v_fma_f64 v[231:232], v[64:65], s[6:7], -v[229:230]
	v_add_f64 v[38:39], v[231:232], v[38:39]
	ds_store_2addr_b64 v72, v[10:11], v[38:39] offset0:14 offset1:21
	v_mul_f64 v[10:11], v[22:23], s[28:29]
	v_mul_f64 v[22:23], v[22:23], s[34:35]
	s_delay_alu instid0(VALU_DEP_2) | instskip(SKIP_1) | instid1(VALU_DEP_2)
	v_fma_f64 v[38:39], v[48:49], s[12:13], -v[10:11]
	v_fma_f64 v[10:11], v[48:49], s[12:13], v[10:11]
	v_add_f64 v[38:39], v[38:39], v[42:43]
	s_delay_alu instid0(VALU_DEP_4) | instskip(SKIP_1) | instid1(VALU_DEP_4)
	v_fma_f64 v[42:43], v[48:49], s[22:23], -v[22:23]
	v_fma_f64 v[22:23], v[48:49], s[22:23], v[22:23]
	v_add_f64 v[10:11], v[10:11], v[34:35]
	s_delay_alu instid0(VALU_DEP_3) | instskip(SKIP_3) | instid1(VALU_DEP_3)
	v_add_f64 v[42:43], v[42:43], v[46:47]
	v_mul_f64 v[46:47], v[24:25], s[30:31]
	v_mul_f64 v[24:25], v[24:25], s[14:15]
	v_add_f64 v[12:13], v[22:23], v[12:13]
	v_fma_f64 v[231:232], v[54:55], s[22:23], -v[46:47]
	v_fma_f64 v[22:23], v[54:55], s[22:23], v[46:47]
	s_delay_alu instid0(VALU_DEP_2) | instskip(SKIP_1) | instid1(VALU_DEP_3)
	v_add_f64 v[38:39], v[231:232], v[38:39]
	v_fma_f64 v[231:232], v[54:55], s[6:7], -v[24:25]
	v_add_f64 v[10:11], v[22:23], v[10:11]
	v_fma_f64 v[22:23], v[54:55], s[6:7], v[24:25]
	s_delay_alu instid0(VALU_DEP_3) | instskip(SKIP_2) | instid1(VALU_DEP_4)
	v_add_f64 v[42:43], v[231:232], v[42:43]
	v_mul_f64 v[231:232], v[26:27], s[18:19]
	v_mul_f64 v[26:27], v[26:27], s[26:27]
	v_add_f64 v[12:13], v[22:23], v[12:13]
	s_delay_alu instid0(VALU_DEP_3) | instskip(SKIP_1) | instid1(VALU_DEP_2)
	v_fma_f64 v[233:234], v[58:59], s[10:11], -v[231:232]
	v_fma_f64 v[22:23], v[58:59], s[10:11], v[231:232]
	v_add_f64 v[38:39], v[233:234], v[38:39]
	v_fma_f64 v[233:234], v[58:59], s[2:3], -v[26:27]
	s_delay_alu instid0(VALU_DEP_3) | instskip(SKIP_1) | instid1(VALU_DEP_3)
	v_add_f64 v[10:11], v[22:23], v[10:11]
	v_fma_f64 v[22:23], v[58:59], s[2:3], v[26:27]
	v_add_f64 v[42:43], v[233:234], v[42:43]
	v_mul_f64 v[233:234], v[28:29], s[26:27]
	v_mul_f64 v[28:29], v[28:29], s[16:17]
	s_delay_alu instid0(VALU_DEP_4) | instskip(NEXT) | instid1(VALU_DEP_3)
	v_add_f64 v[12:13], v[22:23], v[12:13]
	v_fma_f64 v[22:23], v[64:65], s[2:3], v[233:234]
	v_fma_f64 v[235:236], v[64:65], s[2:3], -v[233:234]
	s_delay_alu instid0(VALU_DEP_2) | instskip(SKIP_1) | instid1(VALU_DEP_3)
	v_add_f64 v[10:11], v[22:23], v[10:11]
	v_fma_f64 v[22:23], v[64:65], s[12:13], v[28:29]
	v_add_f64 v[38:39], v[235:236], v[38:39]
	v_fma_f64 v[235:236], v[64:65], s[12:13], -v[28:29]
	s_delay_alu instid0(VALU_DEP_3) | instskip(NEXT) | instid1(VALU_DEP_2)
	v_add_f64 v[12:13], v[22:23], v[12:13]
	v_add_f64 v[42:43], v[235:236], v[42:43]
	ds_store_2addr_b64 v72, v[12:13], v[10:11] offset0:42 offset1:49
	v_fma_f64 v[10:11], v[48:49], s[10:11], v[36:37]
	v_fma_f64 v[12:13], v[54:55], s[10:11], v[40:41]
	ds_store_2addr_b64 v72, v[38:39], v[42:43] offset0:28 offset1:35
	v_add_f64 v[10:11], v[10:11], v[32:33]
	v_add_f64 v[8:9], v[12:13], v[8:9]
	v_fma_f64 v[12:13], v[54:55], s[2:3], v[104:105]
	s_delay_alu instid0(VALU_DEP_1) | instskip(SKIP_1) | instid1(VALU_DEP_1)
	v_add_f64 v[10:11], v[12:13], v[10:11]
	v_fma_f64 v[12:13], v[58:59], s[12:13], v[106:107]
	v_add_f64 v[8:9], v[12:13], v[8:9]
	v_fma_f64 v[12:13], v[58:59], s[22:23], v[110:111]
	s_delay_alu instid0(VALU_DEP_1) | instskip(SKIP_1) | instid1(VALU_DEP_1)
	v_add_f64 v[10:11], v[12:13], v[10:11]
	v_fma_f64 v[12:13], v[64:65], s[22:23], v[227:228]
	v_add_f64 v[8:9], v[12:13], v[8:9]
	v_fma_f64 v[12:13], v[64:65], s[6:7], v[229:230]
	s_delay_alu instid0(VALU_DEP_1) | instskip(SKIP_4) | instid1(VALU_DEP_2)
	v_add_f64 v[10:11], v[12:13], v[10:11]
	v_fma_f64 v[12:13], v[58:59], s[6:7], v[62:63]
	ds_store_2addr_b64 v72, v[10:11], v[8:9] offset0:56 offset1:63
	v_fma_f64 v[8:9], v[48:49], s[2:3], v[50:51]
	v_fma_f64 v[10:11], v[54:55], s[12:13], v[56:57]
	v_add_f64 v[8:9], v[8:9], v[14:15]
	s_delay_alu instid0(VALU_DEP_1) | instskip(SKIP_1) | instid1(VALU_DEP_2)
	v_add_f64 v[8:9], v[10:11], v[8:9]
	v_fma_f64 v[10:11], v[64:65], s[10:11], v[66:67]
	v_add_f64 v[8:9], v[12:13], v[8:9]
	s_delay_alu instid0(VALU_DEP_1)
	v_add_f64 v[8:9], v[10:11], v[8:9]
	ds_store_b64 v72, v[8:9] offset:560
	v_and_b32_e32 v8, 0xffff, v68
	scratch_store_b32 off, v8, off offset:308 ; 4-byte Folded Spill
	s_and_saveexec_b32 s1, s0
	s_cbranch_execz .LBB0_17
; %bb.16:
	s_clause 0x7
	scratch_load_b64 v[8:9], off, off offset:28
	scratch_load_b64 v[10:11], off, off offset:172
	;; [unrolled: 1-line block ×8, first 2 shown]
	s_waitcnt vmcnt(6)
	v_add_f64 v[8:9], v[10:11], -v[8:9]
	s_waitcnt vmcnt(4)
	v_add_f64 v[10:11], v[89:90], v[94:95]
	s_waitcnt vmcnt(2)
	v_add_f64 v[22:23], v[24:25], -v[22:23]
	s_waitcnt vmcnt(0)
	v_add_f64 v[24:25], v[85:86], v[87:88]
	s_delay_alu instid0(VALU_DEP_4) | instskip(NEXT) | instid1(VALU_DEP_3)
	v_mul_f64 v[12:13], v[8:9], s[16:17]
	v_mul_f64 v[26:27], v[22:23], s[24:25]
	;; [unrolled: 1-line block ×4, first 2 shown]
	s_delay_alu instid0(VALU_DEP_4)
	v_fma_f64 v[14:15], v[10:11], s[12:13], -v[12:13]
	v_fma_f64 v[12:13], v[10:11], s[12:13], v[12:13]
	v_fma_f64 v[28:29], v[24:25], s[10:11], -v[26:27]
	v_fma_f64 v[34:35], v[24:25], s[6:7], -v[32:33]
	;; [unrolled: 1-line block ×3, first 2 shown]
	v_add_f64 v[14:15], v[16:17], v[14:15]
	v_add_f64 v[12:13], v[16:17], v[12:13]
	s_delay_alu instid0(VALU_DEP_2) | instskip(SKIP_1) | instid1(VALU_DEP_1)
	v_add_f64 v[14:15], v[28:29], v[14:15]
	v_mul_f64 v[28:29], v[8:9], s[20:21]
	v_fma_f64 v[30:31], v[10:11], s[2:3], -v[28:29]
	s_delay_alu instid0(VALU_DEP_1) | instskip(NEXT) | instid1(VALU_DEP_1)
	v_add_f64 v[30:31], v[16:17], v[30:31]
	v_add_f64 v[30:31], v[34:35], v[30:31]
	s_clause 0x3
	scratch_load_b64 v[34:35], off, off offset:44
	scratch_load_b64 v[36:37], off, off offset:116
	;; [unrolled: 1-line block ×4, first 2 shown]
	s_waitcnt vmcnt(2)
	v_add_f64 v[34:35], v[36:37], -v[34:35]
	s_waitcnt vmcnt(0)
	v_add_f64 v[36:37], v[81:82], v[83:84]
	s_delay_alu instid0(VALU_DEP_2) | instskip(NEXT) | instid1(VALU_DEP_1)
	v_mul_f64 v[38:39], v[34:35], s[26:27]
	v_fma_f64 v[40:41], v[36:37], s[2:3], -v[38:39]
	s_delay_alu instid0(VALU_DEP_1) | instskip(SKIP_1) | instid1(VALU_DEP_1)
	v_add_f64 v[14:15], v[40:41], v[14:15]
	v_mul_f64 v[40:41], v[34:35], s[24:25]
	v_fma_f64 v[42:43], v[36:37], s[10:11], -v[40:41]
	s_delay_alu instid0(VALU_DEP_1)
	v_add_f64 v[30:31], v[42:43], v[30:31]
	s_clause 0x3
	scratch_load_b64 v[42:43], off, off offset:68
	scratch_load_b64 v[46:47], off, off offset:92
	;; [unrolled: 1-line block ×4, first 2 shown]
	s_waitcnt vmcnt(2)
	v_add_f64 v[42:43], v[46:47], -v[42:43]
	s_waitcnt vmcnt(0)
	v_add_f64 v[46:47], v[77:78], v[79:80]
	s_delay_alu instid0(VALU_DEP_2) | instskip(NEXT) | instid1(VALU_DEP_1)
	v_mul_f64 v[48:49], v[42:43], s[30:31]
	v_fma_f64 v[50:51], v[46:47], s[22:23], -v[48:49]
	s_delay_alu instid0(VALU_DEP_1) | instskip(SKIP_1) | instid1(VALU_DEP_1)
	v_add_f64 v[14:15], v[50:51], v[14:15]
	v_mul_f64 v[50:51], v[42:43], s[28:29]
	v_fma_f64 v[54:55], v[46:47], s[12:13], -v[50:51]
	s_delay_alu instid0(VALU_DEP_1)
	v_add_f64 v[30:31], v[54:55], v[30:31]
	s_clause 0x3
	scratch_load_b64 v[54:55], off, off offset:52
	scratch_load_b64 v[56:57], off, off offset:60
	;; [unrolled: 1-line block ×4, first 2 shown]
	s_waitcnt vmcnt(2)
	v_add_f64 v[54:55], v[54:55], -v[56:57]
	s_waitcnt vmcnt(0)
	v_add_f64 v[56:57], v[73:74], v[75:76]
	s_delay_alu instid0(VALU_DEP_2) | instskip(NEXT) | instid1(VALU_DEP_1)
	v_mul_f64 v[58:59], v[54:55], s[14:15]
	v_fma_f64 v[62:63], v[56:57], s[6:7], -v[58:59]
	s_delay_alu instid0(VALU_DEP_1) | instskip(SKIP_1) | instid1(VALU_DEP_1)
	v_add_f64 v[14:15], v[62:63], v[14:15]
	v_mul_f64 v[62:63], v[54:55], s[34:35]
	v_fma_f64 v[64:65], v[56:57], s[22:23], -v[62:63]
	s_delay_alu instid0(VALU_DEP_1) | instskip(SKIP_3) | instid1(VALU_DEP_1)
	v_add_f64 v[30:31], v[64:65], v[30:31]
	scratch_load_b32 v64, off, off offset:308 ; 4-byte Folded Reload
	s_waitcnt vmcnt(0)
	v_mul_u32_u24_e32 v64, 0x268, v64
	v_add3_u32 v68, 0, v64, v91
	v_mul_f64 v[64:65], v[22:23], s[34:35]
	ds_store_2addr_b64 v68, v[30:31], v[14:15] offset0:14 offset1:21
	v_mul_f64 v[14:15], v[8:9], s[18:19]
	v_fma_f64 v[66:67], v[24:25], s[22:23], -v[64:65]
	s_delay_alu instid0(VALU_DEP_2) | instskip(SKIP_1) | instid1(VALU_DEP_2)
	v_fma_f64 v[30:31], v[10:11], s[10:11], -v[14:15]
	v_fma_f64 v[14:15], v[10:11], s[10:11], v[14:15]
	v_add_f64 v[30:31], v[16:17], v[30:31]
	s_delay_alu instid0(VALU_DEP_2) | instskip(NEXT) | instid1(VALU_DEP_2)
	v_add_f64 v[14:15], v[16:17], v[14:15]
	v_add_f64 v[30:31], v[66:67], v[30:31]
	v_mul_f64 v[66:67], v[8:9], s[14:15]
	v_mul_f64 v[8:9], v[8:9], s[30:31]
	s_delay_alu instid0(VALU_DEP_2) | instskip(NEXT) | instid1(VALU_DEP_1)
	v_fma_f64 v[104:105], v[10:11], s[6:7], -v[66:67]
	v_add_f64 v[104:105], v[16:17], v[104:105]
	s_delay_alu instid0(VALU_DEP_1) | instskip(SKIP_1) | instid1(VALU_DEP_1)
	v_add_f64 v[104:105], v[110:111], v[104:105]
	v_mul_f64 v[110:111], v[34:35], s[14:15]
	v_fma_f64 v[227:228], v[36:37], s[6:7], -v[110:111]
	s_delay_alu instid0(VALU_DEP_1) | instskip(SKIP_1) | instid1(VALU_DEP_1)
	v_add_f64 v[30:31], v[227:228], v[30:31]
	v_mul_f64 v[227:228], v[34:35], s[30:31]
	v_fma_f64 v[229:230], v[36:37], s[22:23], -v[227:228]
	;; [unrolled: 4-line block ×6, first 2 shown]
	s_delay_alu instid0(VALU_DEP_1) | instskip(SKIP_3) | instid1(VALU_DEP_2)
	v_add_f64 v[104:105], v[237:238], v[104:105]
	ds_store_2addr_b64 v68, v[104:105], v[30:31] offset0:28 offset1:35
	v_fma_f64 v[30:31], v[24:25], s[22:23], v[64:65]
	v_fma_f64 v[64:65], v[24:25], s[12:13], v[106:107]
	v_add_f64 v[14:15], v[30:31], v[14:15]
	v_fma_f64 v[30:31], v[10:11], s[6:7], v[66:67]
	s_delay_alu instid0(VALU_DEP_1) | instskip(NEXT) | instid1(VALU_DEP_1)
	v_add_f64 v[30:31], v[16:17], v[30:31]
	v_add_f64 v[30:31], v[64:65], v[30:31]
	v_fma_f64 v[64:65], v[36:37], s[6:7], v[110:111]
	s_delay_alu instid0(VALU_DEP_1) | instskip(SKIP_1) | instid1(VALU_DEP_1)
	v_add_f64 v[14:15], v[64:65], v[14:15]
	v_fma_f64 v[64:65], v[36:37], s[22:23], v[227:228]
	v_add_f64 v[30:31], v[64:65], v[30:31]
	v_fma_f64 v[64:65], v[46:47], s[2:3], v[229:230]
	s_delay_alu instid0(VALU_DEP_1) | instskip(SKIP_1) | instid1(VALU_DEP_1)
	v_add_f64 v[14:15], v[64:65], v[14:15]
	v_fma_f64 v[64:65], v[46:47], s[10:11], v[231:232]
	;; [unrolled: 5-line block ×3, first 2 shown]
	v_add_f64 v[30:31], v[64:65], v[30:31]
	ds_store_2addr_b64 v68, v[14:15], v[30:31] offset0:42 offset1:49
	v_fma_f64 v[14:15], v[24:25], s[10:11], v[26:27]
	v_fma_f64 v[26:27], v[24:25], s[6:7], v[32:33]
	s_delay_alu instid0(VALU_DEP_2) | instskip(SKIP_1) | instid1(VALU_DEP_1)
	v_add_f64 v[12:13], v[14:15], v[12:13]
	v_fma_f64 v[14:15], v[10:11], s[2:3], v[28:29]
	v_add_f64 v[14:15], v[16:17], v[14:15]
	s_delay_alu instid0(VALU_DEP_1) | instskip(SKIP_1) | instid1(VALU_DEP_1)
	v_add_f64 v[14:15], v[26:27], v[14:15]
	v_fma_f64 v[26:27], v[36:37], s[2:3], v[38:39]
	v_add_f64 v[12:13], v[26:27], v[12:13]
	v_fma_f64 v[26:27], v[36:37], s[10:11], v[40:41]
	s_delay_alu instid0(VALU_DEP_1) | instskip(SKIP_1) | instid1(VALU_DEP_1)
	v_add_f64 v[14:15], v[26:27], v[14:15]
	v_fma_f64 v[26:27], v[46:47], s[22:23], v[48:49]
	v_add_f64 v[12:13], v[26:27], v[12:13]
	v_fma_f64 v[26:27], v[46:47], s[12:13], v[50:51]
	;; [unrolled: 5-line block ×3, first 2 shown]
	s_delay_alu instid0(VALU_DEP_1) | instskip(SKIP_4) | instid1(VALU_DEP_3)
	v_add_f64 v[14:15], v[26:27], v[14:15]
	ds_store_2addr_b64 v68, v[12:13], v[14:15] offset0:56 offset1:63
	v_mul_f64 v[12:13], v[22:23], s[20:21]
	v_fma_f64 v[14:15], v[10:11], s[22:23], -v[8:9]
	v_fma_f64 v[8:9], v[10:11], s[22:23], v[8:9]
	v_fma_f64 v[22:23], v[24:25], s[2:3], -v[12:13]
	s_delay_alu instid0(VALU_DEP_3) | instskip(SKIP_1) | instid1(VALU_DEP_4)
	v_add_f64 v[14:15], v[16:17], v[14:15]
	v_fma_f64 v[10:11], v[24:25], s[2:3], v[12:13]
	v_add_f64 v[8:9], v[16:17], v[8:9]
	s_delay_alu instid0(VALU_DEP_3) | instskip(SKIP_1) | instid1(VALU_DEP_3)
	v_add_f64 v[14:15], v[22:23], v[14:15]
	v_mul_f64 v[22:23], v[34:35], s[16:17]
	v_add_f64 v[8:9], v[10:11], v[8:9]
	s_delay_alu instid0(VALU_DEP_2) | instskip(SKIP_1) | instid1(VALU_DEP_2)
	v_fma_f64 v[26:27], v[36:37], s[12:13], -v[22:23]
	v_fma_f64 v[12:13], v[36:37], s[12:13], v[22:23]
	v_add_f64 v[14:15], v[26:27], v[14:15]
	v_mul_f64 v[26:27], v[42:43], s[14:15]
	s_delay_alu instid0(VALU_DEP_3) | instskip(NEXT) | instid1(VALU_DEP_2)
	v_add_f64 v[8:9], v[12:13], v[8:9]
	v_fma_f64 v[28:29], v[46:47], s[6:7], -v[26:27]
	v_fma_f64 v[10:11], v[46:47], s[6:7], v[26:27]
	s_delay_alu instid0(VALU_DEP_2) | instskip(SKIP_1) | instid1(VALU_DEP_3)
	v_add_f64 v[14:15], v[28:29], v[14:15]
	v_mul_f64 v[28:29], v[54:55], s[18:19]
	v_add_f64 v[8:9], v[10:11], v[8:9]
	s_delay_alu instid0(VALU_DEP_2) | instskip(SKIP_1) | instid1(VALU_DEP_2)
	v_fma_f64 v[30:31], v[56:57], s[10:11], -v[28:29]
	v_fma_f64 v[12:13], v[56:57], s[10:11], v[28:29]
	v_add_f64 v[14:15], v[30:31], v[14:15]
	v_add_f64 v[30:31], v[16:17], v[89:90]
	s_delay_alu instid0(VALU_DEP_3) | instskip(NEXT) | instid1(VALU_DEP_2)
	v_add_f64 v[8:9], v[12:13], v[8:9]
	v_add_f64 v[30:31], v[30:31], v[85:86]
	ds_store_b64 v68, v[8:9] offset:560
	v_add_f64 v[30:31], v[30:31], v[81:82]
	s_delay_alu instid0(VALU_DEP_1) | instskip(NEXT) | instid1(VALU_DEP_1)
	v_add_f64 v[30:31], v[30:31], v[77:78]
	v_add_f64 v[30:31], v[30:31], v[73:74]
	s_delay_alu instid0(VALU_DEP_1) | instskip(NEXT) | instid1(VALU_DEP_1)
	v_add_f64 v[30:31], v[30:31], v[75:76]
	;; [unrolled: 3-line block ×3, first 2 shown]
	v_add_f64 v[30:31], v[30:31], v[87:88]
	s_delay_alu instid0(VALU_DEP_1)
	v_add_f64 v[30:31], v[30:31], v[94:95]
	ds_store_2addr_b64 v68, v[30:31], v[14:15] offset1:7
.LBB0_17:
	s_or_b32 exec_lo, exec_lo, s1
	v_add_f64 v[2:3], v[2:3], -v[222:223]
	v_add_f64 v[8:9], v[220:221], -v[218:219]
	v_add_f64 v[22:23], v[20:21], v[184:185]
	v_add_f64 v[40:41], v[216:217], v[172:173]
	;; [unrolled: 1-line block ×4, first 2 shown]
	v_add_f64 v[108:109], v[202:203], -v[44:45]
	v_add_f64 v[100:101], v[210:211], -v[208:209]
	v_add_f64 v[114:115], v[254:255], v[200:201]
	v_dual_mov_b32 v157, v137 :: v_dual_mov_b32 v156, v136
	v_add_f64 v[227:228], v[0:1], v[212:213]
	v_dual_mov_b32 v181, v173 :: v_dual_mov_b32 v180, v172
	v_dual_mov_b32 v172, v254 :: v_dual_mov_b32 v173, v255
	s_delay_alu instid0(VALU_DEP_4)
	v_add_f64 v[254:255], v[188:189], v[156:157]
	v_add_f64 v[112:113], v[204:205], -v[52:53]
	v_dual_mov_b32 v159, v127 :: v_dual_mov_b32 v158, v126
	v_add_f64 v[96:97], v[60:61], -v[206:207]
	v_add_f64 v[144:145], v[194:195], v[182:183]
	v_add_nc_u32_e32 v203, 0x800, v253
	v_add_nc_u32_e32 v202, 0x1800, v253
	v_add_f64 v[140:141], v[158:159], v[196:197]
	s_waitcnt lgkmcnt(0)
	s_waitcnt_vscnt null, 0x0
	s_barrier
	buffer_gl0_inv
	v_add_nc_u32_e32 v205, 0x2000, v253
	v_add_nc_u32_e32 v204, 0x3000, v253
	;; [unrolled: 1-line block ×7, first 2 shown]
	v_mul_f64 v[10:11], v[2:3], s[30:31]
	v_mul_f64 v[12:13], v[2:3], s[20:21]
	;; [unrolled: 1-line block ×16, first 2 shown]
	v_fma_f64 v[24:25], v[22:23], s[22:23], v[10:11]
	v_fma_f64 v[10:11], v[22:23], s[22:23], -v[10:11]
	v_fma_f64 v[26:27], v[22:23], s[2:3], v[12:13]
	v_fma_f64 v[12:13], v[22:23], s[2:3], -v[12:13]
	v_fma_f64 v[28:29], v[22:23], s[12:13], v[14:15]
	v_fma_f64 v[14:15], v[22:23], s[12:13], -v[14:15]
	v_fma_f64 v[30:31], v[22:23], s[6:7], v[16:17]
	v_fma_f64 v[16:17], v[22:23], s[6:7], -v[16:17]
	v_fma_f64 v[32:33], v[22:23], s[10:11], v[2:3]
	v_fma_f64 v[2:3], v[22:23], s[10:11], -v[2:3]
	v_mul_f64 v[22:23], v[8:9], s[30:31]
	v_mul_f64 v[8:9], v[8:9], s[18:19]
	v_fma_f64 v[46:47], v[40:41], s[2:3], v[34:35]
	v_fma_f64 v[34:35], v[40:41], s[2:3], -v[34:35]
	v_fma_f64 v[48:49], v[40:41], s[12:13], v[36:37]
	v_fma_f64 v[36:37], v[40:41], s[12:13], -v[36:37]
	;; [unrolled: 2-line block ×3, first 2 shown]
	v_add_f64 v[75:76], v[4:5], v[24:25]
	v_add_f64 v[77:78], v[4:5], v[10:11]
	;; [unrolled: 1-line block ×10, first 2 shown]
	v_fma_f64 v[42:43], v[40:41], s[22:23], v[22:23]
	v_fma_f64 v[22:23], v[40:41], s[22:23], -v[22:23]
	v_fma_f64 v[54:55], v[40:41], s[10:11], v[8:9]
	v_fma_f64 v[8:9], v[40:41], s[10:11], -v[8:9]
	v_add_f64 v[2:3], v[214:215], -v[18:19]
	v_add_f64 v[251:252], v[6:7], v[46:47]
	v_add_f64 v[229:230], v[6:7], v[34:35]
	;; [unrolled: 1-line block ×11, first 2 shown]
	v_mul_f64 v[4:5], v[2:3], s[30:31]
	v_mul_f64 v[6:7], v[2:3], s[20:21]
	;; [unrolled: 1-line block ×5, first 2 shown]
	v_fma_f64 v[18:19], v[16:17], s[22:23], v[4:5]
	v_fma_f64 v[4:5], v[16:17], s[22:23], -v[4:5]
	v_fma_f64 v[20:21], v[16:17], s[2:3], v[6:7]
	v_fma_f64 v[6:7], v[16:17], s[2:3], -v[6:7]
	;; [unrolled: 2-line block ×5, first 2 shown]
	v_add_f64 v[237:238], v[0:1], v[18:19]
	v_add_f64 v[106:107], v[0:1], v[4:5]
	;; [unrolled: 1-line block ×10, first 2 shown]
	v_fma_f64 v[0:1], v[114:115], s[6:7], v[116:117]
	v_fma_f64 v[2:3], v[114:115], s[10:11], v[98:99]
	;; [unrolled: 1-line block ×3, first 2 shown]
	s_delay_alu instid0(VALU_DEP_3) | instskip(NEXT) | instid1(VALU_DEP_3)
	v_add_f64 v[0:1], v[0:1], v[10:11]
	v_add_f64 v[2:3], v[2:3], v[12:13]
	s_delay_alu instid0(VALU_DEP_2) | instskip(SKIP_2) | instid1(VALU_DEP_2)
	v_add_f64 v[0:1], v[4:5], v[0:1]
	v_fma_f64 v[4:5], v[254:255], s[2:3], v[68:69]
	v_fma_f64 v[68:69], v[254:255], s[2:3], -v[68:69]
	v_add_f64 v[2:3], v[4:5], v[2:3]
	v_fma_f64 v[4:5], v[140:141], s[12:13], v[136:137]
	s_delay_alu instid0(VALU_DEP_1) | instskip(SKIP_1) | instid1(VALU_DEP_1)
	v_add_f64 v[0:1], v[4:5], v[0:1]
	v_fma_f64 v[4:5], v[140:141], s[22:23], v[142:143]
	v_add_f64 v[2:3], v[4:5], v[2:3]
	v_fma_f64 v[4:5], v[144:145], s[22:23], v[128:129]
	s_delay_alu instid0(VALU_DEP_1) | instskip(SKIP_1) | instid1(VALU_DEP_1)
	v_add_f64 v[132:133], v[4:5], v[0:1]
	v_fma_f64 v[0:1], v[144:145], s[6:7], v[134:135]
	v_add_f64 v[124:125], v[0:1], v[2:3]
	ds_load_b64 v[104:105], v253 offset:14960
	ds_load_2addr_b64 v[12:15], v253 offset1:55
	ds_load_2addr_b64 v[8:11], v253 offset0:110 offset1:165
	ds_load_2addr_b64 v[0:3], v203 offset0:74 offset1:129
	ds_load_2addr_b64 v[64:67], v202 offset0:2 offset1:57
	ds_load_2addr_b64 v[16:19], v205 offset0:76 offset1:131
	ds_load_2addr_b64 v[60:63], v204 offset0:4 offset1:59
	ds_load_2addr_b64 v[56:59], v203 offset0:184 offset1:239
	ds_load_2addr_b64 v[52:55], v205 offset0:186 offset1:241
	ds_load_2addr_b64 v[48:51], v202 offset0:112 offset1:167
	ds_load_2addr_b64 v[44:47], v204 offset0:114 offset1:169
	ds_load_2addr_b64 v[40:43], v206 offset0:38 offset1:93
	ds_load_2addr_b64 v[36:39], v207 offset0:40 offset1:95
	ds_load_2addr_b64 v[4:7], v208 offset0:92 offset1:147
	ds_load_2addr_b64 v[32:35], v209 offset0:94 offset1:149
	ds_load_2addr_b64 v[28:31], v210 offset0:96 offset1:151
	ds_load_2addr_b64 v[24:27], v206 offset0:148 offset1:203
	ds_load_2addr_b64 v[20:23], v207 offset0:150 offset1:205
	s_waitcnt lgkmcnt(0)
	s_barrier
	buffer_gl0_inv
	ds_store_2addr_b64 v70, v[132:133], v[124:125] offset0:14 offset1:21
	v_mul_f64 v[124:125], v[108:109], s[28:29]
	s_delay_alu instid0(VALU_DEP_1) | instskip(NEXT) | instid1(VALU_DEP_1)
	v_fma_f64 v[132:133], v[114:115], s[12:13], v[124:125]
	v_add_f64 v[83:84], v[132:133], v[83:84]
	v_mul_f64 v[132:133], v[108:109], s[34:35]
	s_delay_alu instid0(VALU_DEP_1) | instskip(NEXT) | instid1(VALU_DEP_1)
	v_fma_f64 v[138:139], v[114:115], s[22:23], v[132:133]
	v_add_f64 v[87:88], v[138:139], v[87:88]
	;; [unrolled: 4-line block ×8, first 2 shown]
	ds_store_2addr_b64 v70, v[83:84], v[87:88] offset0:28 offset1:35
	v_fma_f64 v[83:84], v[114:115], s[12:13], -v[124:125]
	v_fma_f64 v[87:88], v[254:255], s[22:23], -v[138:139]
	s_delay_alu instid0(VALU_DEP_2) | instskip(SKIP_1) | instid1(VALU_DEP_2)
	v_add_f64 v[83:84], v[83:84], v[85:86]
	v_fma_f64 v[85:86], v[114:115], s[22:23], -v[132:133]
	v_add_f64 v[83:84], v[87:88], v[83:84]
	s_delay_alu instid0(VALU_DEP_2) | instskip(SKIP_4) | instid1(VALU_DEP_1)
	v_add_f64 v[85:86], v[85:86], v[89:90]
	v_fma_f64 v[87:88], v[254:255], s[6:7], -v[126:127]
	scratch_load_b64 v[89:90], off, off offset:196 ; 8-byte Folded Reload
	v_add_f64 v[85:86], v[87:88], v[85:86]
	v_fma_f64 v[87:88], v[140:141], s[10:11], -v[164:165]
	v_add_f64 v[83:84], v[87:88], v[83:84]
	v_fma_f64 v[87:88], v[140:141], s[2:3], -v[120:121]
	s_delay_alu instid0(VALU_DEP_1) | instskip(SKIP_1) | instid1(VALU_DEP_1)
	v_add_f64 v[85:86], v[87:88], v[85:86]
	v_fma_f64 v[87:88], v[144:145], s[2:3], -v[118:119]
	v_add_f64 v[83:84], v[87:88], v[83:84]
	v_fma_f64 v[87:88], v[144:145], s[12:13], -v[160:161]
	s_delay_alu instid0(VALU_DEP_1) | instskip(SKIP_2) | instid1(VALU_DEP_1)
	v_add_f64 v[85:86], v[87:88], v[85:86]
	ds_store_2addr_b64 v70, v[85:86], v[83:84] offset0:42 offset1:49
	v_fma_f64 v[83:84], v[114:115], s[6:7], -v[116:117]
	v_add_f64 v[79:80], v[83:84], v[79:80]
	v_fma_f64 v[83:84], v[114:115], s[10:11], -v[98:99]
	s_delay_alu instid0(VALU_DEP_1) | instskip(SKIP_1) | instid1(VALU_DEP_2)
	v_add_f64 v[81:82], v[83:84], v[81:82]
	v_fma_f64 v[83:84], v[254:255], s[10:11], -v[224:225]
	v_add_f64 v[68:69], v[68:69], v[81:82]
	s_delay_alu instid0(VALU_DEP_2) | instskip(SKIP_1) | instid1(VALU_DEP_1)
	v_add_f64 v[79:80], v[83:84], v[79:80]
	v_fma_f64 v[81:82], v[140:141], s[12:13], -v[136:137]
	v_add_f64 v[79:80], v[81:82], v[79:80]
	v_fma_f64 v[81:82], v[140:141], s[22:23], -v[142:143]
	s_delay_alu instid0(VALU_DEP_1) | instskip(SKIP_1) | instid1(VALU_DEP_1)
	v_add_f64 v[68:69], v[81:82], v[68:69]
	v_fma_f64 v[81:82], v[144:145], s[22:23], -v[128:129]
	v_add_f64 v[79:80], v[81:82], v[79:80]
	v_fma_f64 v[81:82], v[144:145], s[6:7], -v[134:135]
	s_delay_alu instid0(VALU_DEP_1)
	v_add_f64 v[68:69], v[81:82], v[68:69]
	ds_store_2addr_b64 v70, v[68:69], v[79:80] offset0:56 offset1:63
	v_add_f64 v[68:69], v[73:74], v[172:173]
	scratch_load_b64 v[172:173], off, off offset:212 ; 8-byte Folded Reload
	v_mul_f64 v[73:74], v[108:109], s[20:21]
	v_add_f64 v[68:69], v[68:69], v[188:189]
	s_delay_alu instid0(VALU_DEP_2) | instskip(NEXT) | instid1(VALU_DEP_2)
	v_fma_f64 v[79:80], v[114:115], s[2:3], v[73:74]
	v_add_f64 v[68:69], v[68:69], v[158:159]
	scratch_load_b64 v[158:159], off, off offset:252 ; 8-byte Folded Reload
	v_add_f64 v[75:76], v[79:80], v[75:76]
	v_mul_f64 v[79:80], v[100:101], s[16:17]
	scratch_load_b64 v[100:101], off, off offset:228 ; 8-byte Folded Reload
	v_add_f64 v[68:69], v[68:69], v[194:195]
	v_fma_f64 v[81:82], v[254:255], s[12:13], v[79:80]
	s_delay_alu instid0(VALU_DEP_2) | instskip(NEXT) | instid1(VALU_DEP_2)
	v_add_f64 v[68:69], v[68:69], v[182:183]
	v_add_f64 v[75:76], v[81:82], v[75:76]
	v_mul_f64 v[81:82], v[112:113], s[14:15]
	s_delay_alu instid0(VALU_DEP_3) | instskip(NEXT) | instid1(VALU_DEP_2)
	v_add_f64 v[68:69], v[68:69], v[196:197]
	v_fma_f64 v[83:84], v[140:141], s[6:7], v[81:82]
	s_delay_alu instid0(VALU_DEP_2)
	v_add_f64 v[68:69], v[68:69], v[156:157]
	scratch_load_b64 v[156:157], off, off offset:260 ; 8-byte Folded Reload
	v_add_f64 v[75:76], v[83:84], v[75:76]
	v_mul_f64 v[83:84], v[96:97], s[18:19]
	scratch_load_b64 v[96:97], off, off offset:268 ; 8-byte Folded Reload
	v_add_f64 v[68:69], v[68:69], v[200:201]
	v_fma_f64 v[85:86], v[144:145], s[10:11], v[83:84]
	s_delay_alu instid0(VALU_DEP_2) | instskip(NEXT) | instid1(VALU_DEP_2)
	v_add_f64 v[68:69], v[68:69], v[184:185]
	v_add_f64 v[75:76], v[85:86], v[75:76]
	scratch_load_b64 v[85:86], off, off offset:220 ; 8-byte Folded Reload
	ds_store_2addr_b64 v70, v[68:69], v[75:76] offset1:7
	v_fma_f64 v[68:69], v[114:115], s[2:3], -v[73:74]
	v_fma_f64 v[73:74], v[254:255], s[12:13], -v[79:80]
	;; [unrolled: 1-line block ×3, first 2 shown]
	scratch_load_b64 v[81:82], off, off offset:284 ; 8-byte Folded Reload
	v_add_f64 v[68:69], v[68:69], v[77:78]
	v_add_f64 v[77:78], v[170:171], -v[178:179]
	scratch_load_b64 v[170:171], off, off offset:292 ; 8-byte Folded Reload
	v_add_f64 v[68:69], v[73:74], v[68:69]
	v_fma_f64 v[73:74], v[144:145], s[10:11], -v[83:84]
	scratch_load_b64 v[83:84], off, off offset:188 ; 8-byte Folded Reload
	v_add_f64 v[68:69], v[75:76], v[68:69]
	v_add_f64 v[75:76], v[102:103], -v[192:193]
	s_delay_alu instid0(VALU_DEP_2)
	v_add_f64 v[68:69], v[73:74], v[68:69]
	v_add_f64 v[73:74], v[148:149], -v[122:123]
	s_clause 0x1
	scratch_load_b64 v[122:123], off, off offset:244
	scratch_load_b64 v[148:149], off, off offset:276
	ds_store_b64 v70, v[68:69] offset:560
	v_add_f64 v[68:69], v[174:175], -v[198:199]
	v_mul_f64 v[114:115], v[73:74], s[24:25]
	v_mul_f64 v[132:133], v[73:74], s[30:31]
	s_waitcnt vmcnt(2)
	v_add_f64 v[79:80], v[247:248], v[83:84]
	v_add_f64 v[83:84], v[83:84], v[190:191]
	s_delay_alu instid0(VALU_DEP_2) | instskip(NEXT) | instid1(VALU_DEP_1)
	v_add_f64 v[79:80], v[79:80], v[96:97]
	v_add_f64 v[79:80], v[79:80], v[89:90]
	s_delay_alu instid0(VALU_DEP_1) | instskip(SKIP_1) | instid1(VALU_DEP_2)
	v_add_f64 v[79:80], v[79:80], v[81:82]
	v_add_f64 v[81:82], v[81:82], v[85:86]
	;; [unrolled: 1-line block ×3, first 2 shown]
	v_mul_f64 v[85:86], v[68:69], s[20:21]
	s_delay_alu instid0(VALU_DEP_1) | instskip(NEXT) | instid1(VALU_DEP_1)
	v_fma_f64 v[87:88], v[83:84], s[2:3], v[85:86]
	v_add_f64 v[87:88], v[87:88], v[94:95]
	scratch_load_b64 v[94:95], off, off offset:300 ; 8-byte Folded Reload
	s_waitcnt vmcnt(0)
	v_add_f64 v[89:90], v[89:90], v[94:95]
	v_add_f64 v[79:80], v[79:80], v[94:95]
	;; [unrolled: 1-line block ×3, first 2 shown]
	v_mul_f64 v[96:97], v[73:74], s[16:17]
	s_delay_alu instid0(VALU_DEP_3) | instskip(NEXT) | instid1(VALU_DEP_3)
	v_add_f64 v[79:80], v[79:80], v[100:101]
	v_fma_f64 v[116:117], v[94:95], s[10:11], v[114:115]
	s_delay_alu instid0(VALU_DEP_3) | instskip(SKIP_1) | instid1(VALU_DEP_4)
	v_fma_f64 v[98:99], v[94:95], s[12:13], v[96:97]
	v_fma_f64 v[134:135], v[94:95], s[22:23], v[132:133]
	v_add_f64 v[79:80], v[79:80], v[190:191]
	s_delay_alu instid0(VALU_DEP_3) | instskip(SKIP_1) | instid1(VALU_DEP_3)
	v_add_f64 v[87:88], v[98:99], v[87:88]
	v_mul_f64 v[98:99], v[75:76], s[14:15]
	v_add_f64 v[79:80], v[79:80], v[180:181]
	s_delay_alu instid0(VALU_DEP_2) | instskip(NEXT) | instid1(VALU_DEP_1)
	v_fma_f64 v[100:101], v[89:90], s[6:7], v[98:99]
	v_add_f64 v[87:88], v[100:101], v[87:88]
	v_mul_f64 v[100:101], v[77:78], s[18:19]
	s_delay_alu instid0(VALU_DEP_1) | instskip(NEXT) | instid1(VALU_DEP_1)
	v_fma_f64 v[108:109], v[81:82], s[10:11], v[100:101]
	v_add_f64 v[87:88], v[108:109], v[87:88]
	v_mul_f64 v[108:109], v[68:69], s[24:25]
	ds_store_2addr_b64 v71, v[79:80], v[87:88] offset1:7
	v_mul_f64 v[79:80], v[68:69], s[14:15]
	v_fma_f64 v[112:113], v[83:84], s[10:11], v[108:109]
	s_delay_alu instid0(VALU_DEP_2) | instskip(NEXT) | instid1(VALU_DEP_2)
	v_fma_f64 v[87:88], v[83:84], s[6:7], v[79:80]
	v_add_f64 v[112:113], v[112:113], v[249:250]
	s_delay_alu instid0(VALU_DEP_2) | instskip(NEXT) | instid1(VALU_DEP_1)
	v_add_f64 v[87:88], v[87:88], v[251:252]
	v_add_f64 v[87:88], v[116:117], v[87:88]
	v_mul_f64 v[116:117], v[73:74], s[26:27]
	v_mul_f64 v[73:74], v[73:74], s[14:15]
	s_delay_alu instid0(VALU_DEP_2) | instskip(NEXT) | instid1(VALU_DEP_1)
	v_fma_f64 v[118:119], v[94:95], s[2:3], v[116:117]
	v_add_f64 v[112:113], v[118:119], v[112:113]
	v_mul_f64 v[118:119], v[75:76], s[28:29]
	s_delay_alu instid0(VALU_DEP_1) | instskip(NEXT) | instid1(VALU_DEP_1)
	v_fma_f64 v[120:121], v[89:90], s[12:13], v[118:119]
	v_add_f64 v[87:88], v[120:121], v[87:88]
	v_mul_f64 v[120:121], v[75:76], s[30:31]
	s_delay_alu instid0(VALU_DEP_1) | instskip(NEXT) | instid1(VALU_DEP_1)
	;; [unrolled: 4-line block ×4, first 2 shown]
	v_fma_f64 v[128:129], v[81:82], s[6:7], v[126:127]
	v_add_f64 v[112:113], v[128:129], v[112:113]
	ds_store_2addr_b64 v71, v[87:88], v[112:113] offset0:14 offset1:21
	v_mul_f64 v[87:88], v[68:69], s[28:29]
	v_mul_f64 v[68:69], v[68:69], s[34:35]
	s_delay_alu instid0(VALU_DEP_2) | instskip(NEXT) | instid1(VALU_DEP_2)
	v_fma_f64 v[112:113], v[83:84], s[12:13], v[87:88]
	v_fma_f64 v[128:129], v[83:84], s[22:23], v[68:69]
	v_fma_f64 v[87:88], v[83:84], s[12:13], -v[87:88]
	v_fma_f64 v[68:69], v[83:84], s[22:23], -v[68:69]
	s_delay_alu instid0(VALU_DEP_4) | instskip(NEXT) | instid1(VALU_DEP_4)
	v_add_f64 v[112:113], v[112:113], v[245:246]
	v_add_f64 v[128:129], v[128:129], v[243:244]
	s_delay_alu instid0(VALU_DEP_4) | instskip(NEXT) | instid1(VALU_DEP_4)
	v_add_f64 v[87:88], v[87:88], v[239:240]
	v_add_f64 v[68:69], v[68:69], v[241:242]
	s_delay_alu instid0(VALU_DEP_4) | instskip(SKIP_2) | instid1(VALU_DEP_2)
	v_add_f64 v[112:113], v[134:135], v[112:113]
	v_fma_f64 v[134:135], v[94:95], s[6:7], v[73:74]
	v_fma_f64 v[73:74], v[94:95], s[6:7], -v[73:74]
	v_add_f64 v[128:129], v[134:135], v[128:129]
	v_mul_f64 v[134:135], v[75:76], s[18:19]
	v_mul_f64 v[75:76], v[75:76], s[26:27]
	s_delay_alu instid0(VALU_DEP_4) | instskip(NEXT) | instid1(VALU_DEP_3)
	v_add_f64 v[68:69], v[73:74], v[68:69]
	v_fma_f64 v[136:137], v[89:90], s[10:11], v[134:135]
	v_fma_f64 v[73:74], v[89:90], s[10:11], -v[134:135]
	s_delay_alu instid0(VALU_DEP_2) | instskip(SKIP_2) | instid1(VALU_DEP_2)
	v_add_f64 v[112:113], v[136:137], v[112:113]
	v_fma_f64 v[136:137], v[89:90], s[2:3], v[75:76]
	v_fma_f64 v[75:76], v[89:90], s[2:3], -v[75:76]
	v_add_f64 v[128:129], v[136:137], v[128:129]
	v_mul_f64 v[136:137], v[77:78], s[26:27]
	v_mul_f64 v[77:78], v[77:78], s[16:17]
	s_delay_alu instid0(VALU_DEP_4) | instskip(NEXT) | instid1(VALU_DEP_3)
	v_add_f64 v[68:69], v[75:76], v[68:69]
	v_fma_f64 v[138:139], v[81:82], s[2:3], v[136:137]
	v_fma_f64 v[75:76], v[81:82], s[2:3], -v[136:137]
	s_delay_alu instid0(VALU_DEP_2) | instskip(SKIP_1) | instid1(VALU_DEP_1)
	v_add_f64 v[112:113], v[138:139], v[112:113]
	v_fma_f64 v[138:139], v[81:82], s[12:13], v[77:78]
	v_add_f64 v[128:129], v[138:139], v[128:129]
	ds_store_2addr_b64 v71, v[112:113], v[128:129] offset0:28 offset1:35
	v_fma_f64 v[112:113], v[94:95], s[22:23], -v[132:133]
	s_delay_alu instid0(VALU_DEP_1) | instskip(NEXT) | instid1(VALU_DEP_1)
	v_add_f64 v[87:88], v[112:113], v[87:88]
	v_add_f64 v[73:74], v[73:74], v[87:88]
	;; [unrolled: 1-line block ×3, first 2 shown]
	s_delay_alu instid0(VALU_DEP_2) | instskip(SKIP_1) | instid1(VALU_DEP_1)
	v_add_f64 v[73:74], v[75:76], v[73:74]
	v_fma_f64 v[75:76], v[81:82], s[12:13], -v[77:78]
	v_add_f64 v[68:69], v[75:76], v[68:69]
	v_fma_f64 v[75:76], v[94:95], s[10:11], -v[114:115]
	ds_store_2addr_b64 v71, v[68:69], v[73:74] offset0:42 offset1:49
	v_fma_f64 v[68:69], v[83:84], s[6:7], -v[79:80]
	v_fma_f64 v[73:74], v[83:84], s[10:11], -v[108:109]
	v_add_f64 v[79:80], v[156:157], v[158:159]
	s_delay_alu instid0(VALU_DEP_3) | instskip(NEXT) | instid1(VALU_DEP_3)
	v_add_f64 v[68:69], v[68:69], v[229:230]
	v_add_f64 v[73:74], v[73:74], v[231:232]
	s_delay_alu instid0(VALU_DEP_2) | instskip(SKIP_1) | instid1(VALU_DEP_1)
	v_add_f64 v[68:69], v[75:76], v[68:69]
	v_fma_f64 v[75:76], v[94:95], s[2:3], -v[116:117]
	v_add_f64 v[73:74], v[75:76], v[73:74]
	v_fma_f64 v[75:76], v[89:90], s[12:13], -v[118:119]
	s_delay_alu instid0(VALU_DEP_1) | instskip(SKIP_1) | instid1(VALU_DEP_1)
	v_add_f64 v[68:69], v[75:76], v[68:69]
	v_fma_f64 v[75:76], v[89:90], s[22:23], -v[120:121]
	v_add_f64 v[73:74], v[75:76], v[73:74]
	v_fma_f64 v[75:76], v[81:82], s[22:23], -v[124:125]
	s_delay_alu instid0(VALU_DEP_1) | instskip(SKIP_1) | instid1(VALU_DEP_1)
	v_add_f64 v[68:69], v[75:76], v[68:69]
	v_fma_f64 v[75:76], v[81:82], s[6:7], -v[126:127]
	v_add_f64 v[73:74], v[75:76], v[73:74]
	v_fma_f64 v[75:76], v[89:90], s[6:7], -v[98:99]
	ds_store_2addr_b64 v71, v[73:74], v[68:69] offset0:56 offset1:63
	v_fma_f64 v[68:69], v[83:84], s[2:3], -v[85:86]
	v_fma_f64 v[73:74], v[94:95], s[12:13], -v[96:97]
	s_delay_alu instid0(VALU_DEP_2) | instskip(NEXT) | instid1(VALU_DEP_1)
	v_add_f64 v[68:69], v[68:69], v[218:219]
	v_add_f64 v[68:69], v[73:74], v[68:69]
	v_fma_f64 v[73:74], v[81:82], s[10:11], -v[100:101]
	s_delay_alu instid0(VALU_DEP_2) | instskip(SKIP_1) | instid1(VALU_DEP_2)
	v_add_f64 v[68:69], v[75:76], v[68:69]
	v_add_f64 v[75:76], v[162:163], -v[150:151]
	v_add_f64 v[68:69], v[73:74], v[68:69]
	v_add_f64 v[73:74], v[152:153], -v[176:177]
	ds_store_b64 v71, v[68:69] offset:560
	v_add_f64 v[68:69], v[146:147], -v[130:131]
	scratch_load_b64 v[130:131], off, off offset:236 ; 8-byte Folded Reload
	v_add_f64 v[70:71], v[166:167], -v[154:155]
	scratch_load_b64 v[154:155], off, off offset:204 ; 8-byte Folded Reload
	v_mul_f64 v[96:97], v[73:74], s[14:15]
	v_mul_f64 v[83:84], v[68:69], s[20:21]
	;; [unrolled: 1-line block ×5, first 2 shown]
	v_fma_f64 v[98:99], v[79:80], s[6:7], v[96:97]
	s_delay_alu instid0(VALU_DEP_4) | instskip(NEXT) | instid1(VALU_DEP_4)
	v_fma_f64 v[94:95], v[87:88], s[12:13], v[89:90]
	v_fma_f64 v[112:113], v[87:88], s[10:11], v[108:109]
	s_delay_alu instid0(VALU_DEP_4) | instskip(SKIP_4) | instid1(VALU_DEP_2)
	v_fma_f64 v[126:127], v[87:88], s[22:23], v[124:125]
	s_waitcnt vmcnt(1)
	v_add_f64 v[77:78], v[227:228], v[130:131]
	s_waitcnt vmcnt(0)
	v_add_f64 v[81:82], v[130:131], v[154:155]
	v_add_f64 v[77:78], v[77:78], v[122:123]
	s_delay_alu instid0(VALU_DEP_2) | instskip(NEXT) | instid1(VALU_DEP_2)
	v_fma_f64 v[85:86], v[81:82], s[2:3], v[83:84]
	v_add_f64 v[77:78], v[77:78], v[156:157]
	s_delay_alu instid0(VALU_DEP_2) | instskip(NEXT) | instid1(VALU_DEP_2)
	v_add_f64 v[85:86], v[85:86], v[237:238]
	v_add_f64 v[77:78], v[77:78], v[170:171]
	s_delay_alu instid0(VALU_DEP_2) | instskip(SKIP_1) | instid1(VALU_DEP_3)
	v_add_f64 v[85:86], v[94:95], v[85:86]
	v_add_f64 v[94:95], v[170:171], v[148:149]
	;; [unrolled: 1-line block ×3, first 2 shown]
	s_delay_alu instid0(VALU_DEP_3) | instskip(SKIP_1) | instid1(VALU_DEP_3)
	v_add_f64 v[85:86], v[98:99], v[85:86]
	v_mul_f64 v[98:99], v[75:76], s[18:19]
	v_add_f64 v[77:78], v[77:78], v[158:159]
	s_delay_alu instid0(VALU_DEP_2) | instskip(NEXT) | instid1(VALU_DEP_2)
	v_fma_f64 v[100:101], v[94:95], s[10:11], v[98:99]
	v_add_f64 v[77:78], v[77:78], v[172:173]
	s_delay_alu instid0(VALU_DEP_2) | instskip(SKIP_1) | instid1(VALU_DEP_3)
	v_add_f64 v[85:86], v[100:101], v[85:86]
	v_mul_f64 v[100:101], v[68:69], s[24:25]
	v_add_f64 v[77:78], v[77:78], v[154:155]
	s_delay_alu instid0(VALU_DEP_2) | instskip(NEXT) | instid1(VALU_DEP_2)
	v_fma_f64 v[102:103], v[81:82], s[10:11], v[100:101]
	v_add_f64 v[77:78], v[77:78], v[186:187]
	s_delay_alu instid0(VALU_DEP_2) | instskip(SKIP_2) | instid1(VALU_DEP_1)
	v_add_f64 v[102:103], v[102:103], v[235:236]
	ds_store_2addr_b64 v72, v[77:78], v[85:86] offset1:7
	v_mul_f64 v[77:78], v[68:69], s[14:15]
	v_fma_f64 v[85:86], v[81:82], s[6:7], v[77:78]
	s_delay_alu instid0(VALU_DEP_1) | instskip(NEXT) | instid1(VALU_DEP_1)
	v_add_f64 v[85:86], v[85:86], v[233:234]
	v_add_f64 v[85:86], v[112:113], v[85:86]
	v_mul_f64 v[112:113], v[70:71], s[26:27]
	v_mul_f64 v[70:71], v[70:71], s[14:15]
	s_delay_alu instid0(VALU_DEP_2) | instskip(NEXT) | instid1(VALU_DEP_1)
	v_fma_f64 v[114:115], v[87:88], s[2:3], v[112:113]
	v_add_f64 v[102:103], v[114:115], v[102:103]
	v_mul_f64 v[114:115], v[73:74], s[28:29]
	s_delay_alu instid0(VALU_DEP_1) | instskip(NEXT) | instid1(VALU_DEP_1)
	v_fma_f64 v[116:117], v[79:80], s[12:13], v[114:115]
	v_add_f64 v[85:86], v[116:117], v[85:86]
	v_mul_f64 v[116:117], v[73:74], s[30:31]
	s_delay_alu instid0(VALU_DEP_1) | instskip(NEXT) | instid1(VALU_DEP_1)
	;; [unrolled: 4-line block ×4, first 2 shown]
	v_fma_f64 v[122:123], v[94:95], s[6:7], v[120:121]
	v_add_f64 v[102:103], v[122:123], v[102:103]
	ds_store_2addr_b64 v72, v[85:86], v[102:103] offset0:14 offset1:21
	v_mul_f64 v[85:86], v[68:69], s[28:29]
	v_mul_f64 v[68:69], v[68:69], s[34:35]
	s_delay_alu instid0(VALU_DEP_2) | instskip(NEXT) | instid1(VALU_DEP_2)
	v_fma_f64 v[102:103], v[81:82], s[12:13], v[85:86]
	v_fma_f64 v[122:123], v[81:82], s[22:23], v[68:69]
	v_fma_f64 v[85:86], v[81:82], s[12:13], -v[85:86]
	v_fma_f64 v[68:69], v[81:82], s[22:23], -v[68:69]
	s_delay_alu instid0(VALU_DEP_4) | instskip(NEXT) | instid1(VALU_DEP_4)
	v_add_f64 v[102:103], v[102:103], v[222:223]
	v_add_f64 v[122:123], v[122:123], v[220:221]
	s_delay_alu instid0(VALU_DEP_4) | instskip(NEXT) | instid1(VALU_DEP_4)
	v_add_f64 v[85:86], v[85:86], v[214:215]
	v_add_f64 v[68:69], v[68:69], v[216:217]
	s_delay_alu instid0(VALU_DEP_4) | instskip(SKIP_2) | instid1(VALU_DEP_2)
	v_add_f64 v[102:103], v[126:127], v[102:103]
	v_fma_f64 v[126:127], v[87:88], s[6:7], v[70:71]
	v_fma_f64 v[70:71], v[87:88], s[6:7], -v[70:71]
	v_add_f64 v[122:123], v[126:127], v[122:123]
	v_mul_f64 v[126:127], v[73:74], s[18:19]
	v_mul_f64 v[73:74], v[73:74], s[26:27]
	s_delay_alu instid0(VALU_DEP_4) | instskip(NEXT) | instid1(VALU_DEP_3)
	v_add_f64 v[68:69], v[70:71], v[68:69]
	v_fma_f64 v[128:129], v[79:80], s[10:11], v[126:127]
	v_fma_f64 v[70:71], v[79:80], s[10:11], -v[126:127]
	s_delay_alu instid0(VALU_DEP_2) | instskip(SKIP_2) | instid1(VALU_DEP_2)
	v_add_f64 v[102:103], v[128:129], v[102:103]
	v_fma_f64 v[128:129], v[79:80], s[2:3], v[73:74]
	v_fma_f64 v[73:74], v[79:80], s[2:3], -v[73:74]
	v_add_f64 v[122:123], v[128:129], v[122:123]
	v_mul_f64 v[128:129], v[75:76], s[26:27]
	v_mul_f64 v[75:76], v[75:76], s[16:17]
	s_delay_alu instid0(VALU_DEP_4) | instskip(NEXT) | instid1(VALU_DEP_3)
	v_add_f64 v[68:69], v[73:74], v[68:69]
	v_fma_f64 v[130:131], v[94:95], s[2:3], v[128:129]
	v_fma_f64 v[73:74], v[94:95], s[2:3], -v[128:129]
	s_delay_alu instid0(VALU_DEP_2) | instskip(SKIP_1) | instid1(VALU_DEP_1)
	v_add_f64 v[102:103], v[130:131], v[102:103]
	v_fma_f64 v[130:131], v[94:95], s[12:13], v[75:76]
	v_add_f64 v[122:123], v[130:131], v[122:123]
	ds_store_2addr_b64 v72, v[102:103], v[122:123] offset0:28 offset1:35
	v_fma_f64 v[102:103], v[87:88], s[22:23], -v[124:125]
	s_delay_alu instid0(VALU_DEP_1) | instskip(NEXT) | instid1(VALU_DEP_1)
	v_add_f64 v[85:86], v[102:103], v[85:86]
	v_add_f64 v[70:71], v[70:71], v[85:86]
	s_delay_alu instid0(VALU_DEP_1) | instskip(SKIP_1) | instid1(VALU_DEP_1)
	v_add_f64 v[70:71], v[73:74], v[70:71]
	v_fma_f64 v[73:74], v[94:95], s[12:13], -v[75:76]
	v_add_f64 v[68:69], v[73:74], v[68:69]
	v_fma_f64 v[73:74], v[87:88], s[10:11], -v[108:109]
	ds_store_2addr_b64 v72, v[68:69], v[70:71] offset0:42 offset1:49
	v_fma_f64 v[68:69], v[81:82], s[6:7], -v[77:78]
	v_fma_f64 v[70:71], v[81:82], s[10:11], -v[100:101]
	s_delay_alu instid0(VALU_DEP_2) | instskip(NEXT) | instid1(VALU_DEP_2)
	v_add_f64 v[68:69], v[68:69], v[110:111]
	v_add_f64 v[70:71], v[70:71], v[212:213]
	s_delay_alu instid0(VALU_DEP_2) | instskip(SKIP_1) | instid1(VALU_DEP_1)
	v_add_f64 v[68:69], v[73:74], v[68:69]
	v_fma_f64 v[73:74], v[87:88], s[2:3], -v[112:113]
	v_add_f64 v[70:71], v[73:74], v[70:71]
	v_fma_f64 v[73:74], v[79:80], s[12:13], -v[114:115]
	s_delay_alu instid0(VALU_DEP_1) | instskip(SKIP_1) | instid1(VALU_DEP_1)
	v_add_f64 v[68:69], v[73:74], v[68:69]
	v_fma_f64 v[73:74], v[79:80], s[22:23], -v[116:117]
	v_add_f64 v[70:71], v[73:74], v[70:71]
	v_fma_f64 v[73:74], v[94:95], s[22:23], -v[118:119]
	s_delay_alu instid0(VALU_DEP_1) | instskip(SKIP_1) | instid1(VALU_DEP_1)
	v_add_f64 v[68:69], v[73:74], v[68:69]
	v_fma_f64 v[73:74], v[94:95], s[6:7], -v[120:121]
	v_add_f64 v[70:71], v[73:74], v[70:71]
	ds_store_2addr_b64 v72, v[70:71], v[68:69] offset0:56 offset1:63
	v_fma_f64 v[68:69], v[81:82], s[2:3], -v[83:84]
	v_fma_f64 v[70:71], v[87:88], s[12:13], -v[89:90]
	s_delay_alu instid0(VALU_DEP_2) | instskip(NEXT) | instid1(VALU_DEP_1)
	v_add_f64 v[68:69], v[68:69], v[106:107]
	v_add_f64 v[68:69], v[70:71], v[68:69]
	v_fma_f64 v[70:71], v[79:80], s[6:7], -v[96:97]
	s_delay_alu instid0(VALU_DEP_1) | instskip(SKIP_1) | instid1(VALU_DEP_1)
	v_add_f64 v[68:69], v[70:71], v[68:69]
	v_fma_f64 v[70:71], v[94:95], s[10:11], -v[98:99]
	v_add_f64 v[68:69], v[70:71], v[68:69]
	ds_store_b64 v72, v[68:69] offset:560
	s_and_saveexec_b32 s28, s0
	s_cbranch_execz .LBB0_19
; %bb.18:
	s_clause 0x5
	scratch_load_b64 v[72:73], off, off offset:172
	scratch_load_b64 v[86:87], off, off offset:124
	;; [unrolled: 1-line block ×6, first 2 shown]
	s_mov_b32 s22, 0xf8bb580b
	s_mov_b32 s12, 0x43842ef
	;; [unrolled: 1-line block ×22, first 2 shown]
	s_waitcnt vmcnt(5)
	v_add_f64 v[68:69], v[92:93], v[72:73]
	s_waitcnt vmcnt(2)
	v_add_f64 v[70:71], v[70:71], -v[74:75]
	s_clause 0x7
	scratch_load_b64 v[74:75], off, off offset:148
	scratch_load_b64 v[76:77], off, off offset:156
	;; [unrolled: 1-line block ×8, first 2 shown]
	s_waitcnt vmcnt(8)
	v_add_f64 v[72:73], v[72:73], v[150:151]
	v_add_f64 v[68:69], v[68:69], v[86:87]
	v_mul_f64 v[78:79], v[70:71], s[10:11]
	v_mul_f64 v[80:81], v[70:71], s[12:13]
	;; [unrolled: 1-line block ×3, first 2 shown]
	s_delay_alu instid0(VALU_DEP_4) | instskip(NEXT) | instid1(VALU_DEP_4)
	v_add_f64 v[68:69], v[68:69], v[112:113]
	v_fma_f64 v[102:103], v[72:73], s[0:1], v[78:79]
	v_fma_f64 v[78:79], v[72:73], s[0:1], -v[78:79]
	v_fma_f64 v[106:107], v[72:73], s[2:3], v[80:81]
	v_fma_f64 v[108:109], v[72:73], s[16:17], v[82:83]
	v_fma_f64 v[82:83], v[72:73], s[16:17], -v[82:83]
	v_fma_f64 v[80:81], v[72:73], s[2:3], -v[80:81]
	v_add_f64 v[78:79], v[92:93], v[78:79]
	s_delay_alu instid0(VALU_DEP_3) | instskip(NEXT) | instid1(VALU_DEP_3)
	v_add_f64 v[82:83], v[92:93], v[82:83]
	v_add_f64 v[80:81], v[92:93], v[80:81]
	s_waitcnt vmcnt(6)
	v_add_f64 v[74:75], v[74:75], -v[76:77]
	v_mul_f64 v[76:77], v[70:71], s[22:23]
	v_mul_f64 v[70:71], v[70:71], s[18:19]
	s_waitcnt vmcnt(3)
	v_add_f64 v[84:85], v[84:85], -v[88:89]
	s_waitcnt vmcnt(2)
	v_add_f64 v[86:87], v[86:87], v[152:153]
	v_add_f64 v[68:69], v[68:69], v[132:133]
	v_mul_f64 v[88:89], v[74:75], s[10:11]
	v_fma_f64 v[100:101], v[72:73], s[6:7], v[76:77]
	v_fma_f64 v[110:111], v[72:73], s[20:21], v[70:71]
	v_fma_f64 v[70:71], v[72:73], s[20:21], -v[70:71]
	v_fma_f64 v[72:73], v[72:73], s[6:7], -v[76:77]
	s_waitcnt vmcnt(1)
	v_add_f64 v[76:77], v[112:113], v[154:155]
	s_clause 0x3
	scratch_load_b64 v[112:113], off, off offset:100
	scratch_load_b64 v[114:115], off, off offset:108
	;; [unrolled: 1-line block ×4, first 2 shown]
	v_mul_f64 v[94:95], v[74:75], s[14:15]
	v_mul_f64 v[96:97], v[74:75], s[30:31]
	;; [unrolled: 1-line block ×4, first 2 shown]
	s_mov_b32 s11, 0x3fed1bb4
	v_mul_f64 v[116:117], v[84:85], s[30:31]
	v_mul_f64 v[118:119], v[84:85], s[22:23]
	;; [unrolled: 1-line block ×3, first 2 shown]
	s_waitcnt vmcnt(4)
	v_add_f64 v[68:69], v[68:69], v[156:157]
	v_fma_f64 v[122:123], v[86:87], s[0:1], v[88:89]
	v_fma_f64 v[88:89], v[86:87], s[0:1], -v[88:89]
	v_add_f64 v[70:71], v[92:93], v[70:71]
	v_add_f64 v[72:73], v[92:93], v[72:73]
	v_fma_f64 v[124:125], v[86:87], s[16:17], v[94:95]
	v_fma_f64 v[94:95], v[86:87], s[16:17], -v[94:95]
	v_fma_f64 v[126:127], v[86:87], s[20:21], v[96:97]
	v_fma_f64 v[96:97], v[86:87], s[20:21], -v[96:97]
	;; [unrolled: 2-line block ×4, first 2 shown]
	v_add_f64 v[86:87], v[92:93], v[100:101]
	v_add_f64 v[100:101], v[92:93], v[102:103]
	v_add_f64 v[102:103], v[92:93], v[106:107]
	v_add_f64 v[106:107], v[92:93], v[108:109]
	v_add_f64 v[108:109], v[92:93], v[110:111]
	v_fma_f64 v[142:143], v[76:77], s[20:21], v[116:117]
	v_fma_f64 v[116:117], v[76:77], s[20:21], -v[116:117]
	v_fma_f64 v[144:145], v[76:77], s[6:7], v[118:119]
	v_fma_f64 v[118:119], v[76:77], s[6:7], -v[118:119]
	;; [unrolled: 2-line block ×3, first 2 shown]
	v_add_f64 v[72:73], v[88:89], v[72:73]
	v_add_f64 v[78:79], v[94:95], v[78:79]
	;; [unrolled: 1-line block ×10, first 2 shown]
	s_delay_alu instid0(VALU_DEP_4)
	v_add_f64 v[98:99], v[146:147], v[98:99]
	s_waitcnt vmcnt(2)
	v_add_f64 v[112:113], v[112:113], -v[114:115]
	v_mul_f64 v[114:115], v[84:85], s[12:13]
	s_waitcnt vmcnt(0)
	v_add_f64 v[92:93], v[132:133], v[160:161]
	s_clause 0x1
	scratch_load_b64 v[110:111], off, off offset:76
	scratch_load_b64 v[132:133], off, off offset:84
	v_mul_f64 v[84:85], v[84:85], s[10:11]
	v_add_f64 v[80:81], v[156:157], v[158:159]
	v_add_f64 v[68:69], v[68:69], v[158:159]
	v_mul_f64 v[134:135], v[112:113], s[26:27]
	v_fma_f64 v[140:141], v[76:77], s[2:3], v[114:115]
	v_fma_f64 v[114:115], v[76:77], s[2:3], -v[114:115]
	v_mul_f64 v[136:137], v[112:113], s[22:23]
	v_fma_f64 v[148:149], v[76:77], s[0:1], v[84:85]
	v_fma_f64 v[76:77], v[76:77], s[0:1], -v[84:85]
	v_add_f64 v[84:85], v[122:123], v[86:87]
	v_add_f64 v[86:87], v[124:125], v[100:101]
	v_mul_f64 v[138:139], v[112:113], s[18:19]
	v_add_f64 v[100:101], v[128:129], v[106:107]
	v_add_f64 v[68:69], v[68:69], v[160:161]
	v_fma_f64 v[124:125], v[92:93], s[2:3], v[134:135]
	v_fma_f64 v[126:127], v[92:93], s[2:3], -v[134:135]
	v_add_f64 v[72:73], v[114:115], v[72:73]
	v_fma_f64 v[128:129], v[92:93], s[6:7], v[136:137]
	v_add_f64 v[94:95], v[148:149], v[94:95]
	v_add_f64 v[74:75], v[76:77], v[74:75]
	;; [unrolled: 1-line block ×4, first 2 shown]
	v_fma_f64 v[130:131], v[92:93], s[6:7], -v[136:137]
	v_fma_f64 v[134:135], v[92:93], s[20:21], -v[138:139]
	v_add_f64 v[100:101], v[144:145], v[100:101]
	v_add_f64 v[68:69], v[68:69], v[154:155]
	;; [unrolled: 1-line block ×8, first 2 shown]
	s_delay_alu instid0(VALU_DEP_1) | instskip(SKIP_4) | instid1(VALU_DEP_3)
	v_add_f64 v[68:69], v[68:69], v[150:151]
	s_waitcnt vmcnt(0)
	v_add_f64 v[110:111], v[110:111], -v[132:133]
	v_mul_f64 v[132:133], v[112:113], s[14:15]
	v_mul_f64 v[112:113], v[112:113], s[10:11]
	;; [unrolled: 1-line block ×3, first 2 shown]
	s_delay_alu instid0(VALU_DEP_3)
	v_fma_f64 v[122:123], v[92:93], s[16:17], -v[132:133]
	v_mul_f64 v[96:97], v[110:111], s[24:25]
	v_mul_f64 v[102:103], v[110:111], s[14:15]
	;; [unrolled: 1-line block ×4, first 2 shown]
	v_fma_f64 v[110:111], v[92:93], s[16:17], v[132:133]
	v_fma_f64 v[132:133], v[92:93], s[20:21], v[138:139]
	;; [unrolled: 1-line block ×3, first 2 shown]
	v_fma_f64 v[92:93], v[92:93], s[0:1], -v[112:113]
	v_fma_f64 v[76:77], v[80:81], s[20:21], v[88:89]
	v_fma_f64 v[88:89], v[80:81], s[20:21], -v[88:89]
	v_add_f64 v[72:73], v[122:123], v[72:73]
	v_fma_f64 v[112:113], v[80:81], s[6:7], v[96:97]
	v_fma_f64 v[114:115], v[80:81], s[16:17], v[102:103]
	v_fma_f64 v[96:97], v[80:81], s[6:7], -v[96:97]
	v_add_f64 v[84:85], v[110:111], v[84:85]
	v_fma_f64 v[102:103], v[80:81], s[16:17], -v[102:103]
	v_fma_f64 v[116:117], v[80:81], s[2:3], v[106:107]
	v_fma_f64 v[106:107], v[80:81], s[2:3], -v[106:107]
	v_fma_f64 v[118:119], v[80:81], s[0:1], v[108:109]
	v_fma_f64 v[80:81], v[80:81], s[0:1], -v[108:109]
	v_add_f64 v[100:101], v[132:133], v[100:101]
	v_add_f64 v[98:99], v[136:137], v[98:99]
	;; [unrolled: 1-line block ×4, first 2 shown]
	scratch_load_b32 v88, off, off offset:308 ; 4-byte Folded Reload
	v_add_f64 v[78:79], v[96:97], v[78:79]
	v_add_f64 v[76:77], v[76:77], v[84:85]
	;; [unrolled: 1-line block ×9, first 2 shown]
	s_waitcnt vmcnt(0)
	v_mul_u32_u24_e32 v88, 0x268, v88
	s_delay_alu instid0(VALU_DEP_1)
	v_add3_u32 v88, 0, v88, v91
	ds_store_2addr_b64 v88, v[84:85], v[86:87] offset0:14 offset1:21
	ds_store_2addr_b64 v88, v[92:93], v[82:83] offset0:28 offset1:35
	;; [unrolled: 1-line block ×4, first 2 shown]
	ds_store_2addr_b64 v88, v[68:69], v[76:77] offset1:7
	ds_store_b64 v88, v[72:73] offset:560
.LBB0_19:
	s_or_b32 exec_lo, exec_lo, s28
	v_dual_mov_b32 v74, 0 :: v_dual_lshlrev_b32 v73, 2, v226
	s_waitcnt lgkmcnt(0)
	s_barrier
	buffer_gl0_inv
	ds_load_2addr_b64 v[77:80], v202 offset0:2 offset1:57
	v_lshlrev_b64 v[68:69], 4, v[73:74]
	v_add_nc_u32_e32 v221, 55, v226
	v_add_nc_u32_e32 v222, 0x6e, v226
	;; [unrolled: 1-line block ×5, first 2 shown]
	v_add_co_u32 v75, s0, s4, v68
	s_delay_alu instid0(VALU_DEP_1)
	v_add_co_ci_u32_e64 v76, s0, s5, v69, s0
	v_cmp_gt_u32_e64 s0, 22, v226
	v_add_nc_u32_e32 v255, 0x14a, v226
	s_mov_b32 s6, 0x134454ff
	s_clause 0x1
	global_load_b128 v[68:71], v[75:76], off offset:1136
	global_load_b128 v[187:190], v[75:76], off offset:1120
	s_mov_b32 s7, 0x3fee6f0e
	s_mov_b32 s2, 0x4755a5e
	;; [unrolled: 1-line block ×9, first 2 shown]
	s_waitcnt vmcnt(1) lgkmcnt(0)
	v_mul_f64 v[72:73], v[77:78], v[70:71]
	s_delay_alu instid0(VALU_DEP_1) | instskip(SKIP_1) | instid1(VALU_DEP_1)
	v_fma_f64 v[144:145], v[64:65], v[68:69], -v[72:73]
	v_mul_f64 v[64:65], v[64:65], v[70:71]
	v_fma_f64 v[136:137], v[77:78], v[68:69], v[64:65]
	v_subrev_nc_u32_e32 v64, 22, v226
	s_delay_alu instid0(VALU_DEP_1) | instskip(NEXT) | instid1(VALU_DEP_1)
	v_cndmask_b32_e64 v68, v64, v221, s0
	v_lshlrev_b32_e32 v73, 2, v68
	s_delay_alu instid0(VALU_DEP_1) | instskip(NEXT) | instid1(VALU_DEP_1)
	v_lshlrev_b64 v[64:65], 4, v[73:74]
	v_add_co_u32 v85, s0, s4, v64
	s_delay_alu instid0(VALU_DEP_1)
	v_add_co_ci_u32_e64 v86, s0, s5, v65, s0
	s_clause 0x1
	global_load_b128 v[69:72], v[85:86], off offset:1136
	global_load_b128 v[81:84], v[85:86], off offset:1120
	v_cmp_lt_u32_e64 s0, 21, v226
	global_load_b128 v[180:183], v[75:76], off offset:1152
	s_waitcnt vmcnt(2)
	v_mul_f64 v[64:65], v[79:80], v[71:72]
	s_delay_alu instid0(VALU_DEP_1) | instskip(SKIP_1) | instid1(VALU_DEP_1)
	v_fma_f64 v[116:117], v[66:67], v[69:70], -v[64:65]
	v_mul_f64 v[64:65], v[66:67], v[71:72]
	v_fma_f64 v[89:90], v[79:80], v[69:70], v[64:65]
	global_load_b128 v[69:72], v[75:76], off offset:1168
	ds_load_2addr_b64 v[77:80], v204 offset0:4 offset1:59
	s_waitcnt vmcnt(0) lgkmcnt(0)
	v_mul_f64 v[64:65], v[77:78], v[71:72]
	s_delay_alu instid0(VALU_DEP_1) | instskip(SKIP_1) | instid1(VALU_DEP_1)
	v_fma_f64 v[64:65], v[60:61], v[69:70], -v[64:65]
	v_mul_f64 v[60:61], v[60:61], v[71:72]
	v_fma_f64 v[168:169], v[77:78], v[69:70], v[60:61]
	s_clause 0x1
	global_load_b128 v[69:72], v[85:86], off offset:1168
	global_load_b128 v[91:94], v[85:86], off offset:1152
	s_waitcnt vmcnt(1)
	v_mul_f64 v[60:61], v[79:80], v[71:72]
	s_delay_alu instid0(VALU_DEP_1) | instskip(SKIP_1) | instid1(VALU_DEP_1)
	v_fma_f64 v[146:147], v[62:63], v[69:70], -v[60:61]
	v_mul_f64 v[60:61], v[62:63], v[71:72]
	v_fma_f64 v[118:119], v[79:80], v[69:70], v[60:61]
	ds_load_2addr_b64 v[60:63], v203 offset0:184 offset1:239
	s_waitcnt lgkmcnt(0)
	v_mul_f64 v[66:67], v[60:61], v[83:84]
	s_delay_alu instid0(VALU_DEP_1) | instskip(SKIP_1) | instid1(VALU_DEP_1)
	v_fma_f64 v[154:155], v[56:57], v[81:82], -v[66:67]
	v_mul_f64 v[56:57], v[56:57], v[83:84]
	v_fma_f64 v[134:135], v[60:61], v[81:82], v[56:57]
	scratch_load_b32 v56, off, off offset:8 ; 4-byte Folded Reload
	s_waitcnt vmcnt(0)
	v_mul_lo_u16 v56, 0xd5, v56
	s_delay_alu instid0(VALU_DEP_1) | instskip(NEXT) | instid1(VALU_DEP_1)
	v_lshrrev_b16 v60, 14, v56
	v_mul_lo_u16 v56, 0x4d, v60
	s_delay_alu instid0(VALU_DEP_1) | instskip(NEXT) | instid1(VALU_DEP_1)
	v_sub_nc_u16 v56, v222, v56
	v_and_b32_e32 v61, 0xff, v56
	s_delay_alu instid0(VALU_DEP_1)
	v_lshlrev_b32_e32 v66, 6, v61
	s_clause 0x1
	global_load_b128 v[69:72], v66, s[4:5] offset:1120
	global_load_b128 v[77:80], v66, s[4:5] offset:1136
	s_waitcnt vmcnt(1)
	v_mul_f64 v[56:57], v[62:63], v[71:72]
	s_delay_alu instid0(VALU_DEP_1) | instskip(SKIP_1) | instid1(VALU_DEP_1)
	v_fma_f64 v[124:125], v[58:59], v[69:70], -v[56:57]
	v_mul_f64 v[56:57], v[58:59], v[71:72]
	v_fma_f64 v[85:86], v[62:63], v[69:70], v[56:57]
	ds_load_2addr_b64 v[56:59], v205 offset0:186 offset1:241
	s_waitcnt lgkmcnt(0)
	v_mul_f64 v[62:63], v[56:57], v[93:94]
	s_delay_alu instid0(VALU_DEP_1) | instskip(SKIP_1) | instid1(VALU_DEP_1)
	v_fma_f64 v[178:179], v[52:53], v[91:92], -v[62:63]
	v_mul_f64 v[52:53], v[52:53], v[93:94]
	v_fma_f64 v[164:165], v[56:57], v[91:92], v[52:53]
	s_clause 0x1
	global_load_b128 v[69:72], v66, s[4:5] offset:1152
	global_load_b128 v[91:94], v66, s[4:5] offset:1168
	s_waitcnt vmcnt(1)
	v_mul_f64 v[52:53], v[58:59], v[71:72]
	s_delay_alu instid0(VALU_DEP_1) | instskip(SKIP_1) | instid1(VALU_DEP_1)
	v_fma_f64 v[150:151], v[54:55], v[69:70], -v[52:53]
	v_mul_f64 v[52:53], v[54:55], v[71:72]
	v_fma_f64 v[112:113], v[58:59], v[69:70], v[52:53]
	ds_load_2addr_b64 v[52:55], v202 offset0:112 offset1:167
	s_waitcnt lgkmcnt(0)
	v_mul_f64 v[56:57], v[52:53], v[79:80]
	s_delay_alu instid0(VALU_DEP_1) | instskip(SKIP_1) | instid1(VALU_DEP_1)
	v_fma_f64 v[156:157], v[48:49], v[77:78], -v[56:57]
	v_mul_f64 v[48:49], v[48:49], v[79:80]
	v_fma_f64 v[132:133], v[52:53], v[77:78], v[48:49]
	scratch_load_b32 v48, off, off offset:12 ; 4-byte Folded Reload
	s_waitcnt vmcnt(0)
	v_mul_lo_u16 v48, 0xd5, v48
	s_delay_alu instid0(VALU_DEP_1) | instskip(NEXT) | instid1(VALU_DEP_1)
	v_lshrrev_b16 v48, 14, v48
	v_mul_lo_u16 v48, 0x4d, v48
	s_delay_alu instid0(VALU_DEP_1) | instskip(NEXT) | instid1(VALU_DEP_1)
	v_sub_nc_u16 v48, v223, v48
	v_and_b32_e32 v48, 0xff, v48
	s_delay_alu instid0(VALU_DEP_1) | instskip(SKIP_4) | instid1(VALU_DEP_1)
	v_lshlrev_b32_e32 v62, 6, v48
	s_clause 0x1
	global_load_b128 v[56:59], v62, s[4:5] offset:1136
	global_load_b128 v[69:72], v62, s[4:5] offset:1120
	v_lshl_add_u32 v185, v48, 3, 0
	v_add_nc_u32_e32 v201, 0x1800, v185
	s_waitcnt vmcnt(1)
	v_mul_f64 v[52:53], v[54:55], v[58:59]
	s_delay_alu instid0(VALU_DEP_1) | instskip(SKIP_1) | instid1(VALU_DEP_1)
	v_fma_f64 v[97:98], v[50:51], v[56:57], -v[52:53]
	v_mul_f64 v[49:50], v[50:51], v[58:59]
	v_fma_f64 v[83:84], v[54:55], v[56:57], v[49:50]
	ds_load_2addr_b64 v[49:52], v204 offset0:114 offset1:169
	s_waitcnt lgkmcnt(0)
	v_mul_f64 v[53:54], v[49:50], v[93:94]
	s_delay_alu instid0(VALU_DEP_1) | instskip(SKIP_4) | instid1(VALU_DEP_1)
	v_fma_f64 v[176:177], v[44:45], v[91:92], -v[53:54]
	s_clause 0x1
	global_load_b128 v[53:56], v62, s[4:5] offset:1168
	global_load_b128 v[77:80], v62, s[4:5] offset:1152
	v_mul_f64 v[44:45], v[44:45], v[93:94]
	v_fma_f64 v[162:163], v[49:50], v[91:92], v[44:45]
	s_waitcnt vmcnt(1)
	v_mul_f64 v[44:45], v[51:52], v[55:56]
	s_delay_alu instid0(VALU_DEP_1) | instskip(SKIP_1) | instid1(VALU_DEP_1)
	v_fma_f64 v[128:129], v[46:47], v[53:54], -v[44:45]
	v_mul_f64 v[44:45], v[46:47], v[55:56]
	v_fma_f64 v[99:100], v[51:52], v[53:54], v[44:45]
	ds_load_2addr_b64 v[44:47], v206 offset0:38 offset1:93
	s_waitcnt lgkmcnt(0)
	v_mul_f64 v[49:50], v[44:45], v[71:72]
	s_delay_alu instid0(VALU_DEP_1) | instskip(SKIP_1) | instid1(VALU_DEP_1)
	v_fma_f64 v[140:141], v[40:41], v[69:70], -v[49:50]
	v_mul_f64 v[40:41], v[40:41], v[71:72]
	v_fma_f64 v[120:121], v[44:45], v[69:70], v[40:41]
	v_and_b32_e32 v40, 0xffff, v224
	s_delay_alu instid0(VALU_DEP_1) | instskip(NEXT) | instid1(VALU_DEP_1)
	v_mul_u32_u24_e32 v40, 0x1a99, v40
	v_lshrrev_b32_e32 v40, 19, v40
	s_delay_alu instid0(VALU_DEP_1) | instskip(NEXT) | instid1(VALU_DEP_1)
	v_mul_lo_u16 v41, 0x4d, v40
	v_sub_nc_u16 v41, v224, v41
	s_delay_alu instid0(VALU_DEP_1) | instskip(NEXT) | instid1(VALU_DEP_1)
	v_and_b32_e32 v41, 0xffff, v41
	v_lshlrev_b32_e32 v57, 6, v41
	s_clause 0x1
	global_load_b128 v[49:52], v57, s[4:5] offset:1120
	global_load_b128 v[53:56], v57, s[4:5] offset:1136
	s_waitcnt vmcnt(1)
	v_mul_f64 v[44:45], v[46:47], v[51:52]
	s_delay_alu instid0(VALU_DEP_1) | instskip(SKIP_1) | instid1(VALU_DEP_1)
	v_fma_f64 v[106:107], v[42:43], v[49:50], -v[44:45]
	v_mul_f64 v[42:43], v[42:43], v[51:52]
	v_fma_f64 v[81:82], v[46:47], v[49:50], v[42:43]
	ds_load_2addr_b64 v[42:45], v207 offset0:40 offset1:95
	s_clause 0x1
	global_load_b128 v[49:52], v57, s[4:5] offset:1152
	global_load_b128 v[69:72], v57, s[4:5] offset:1168
	s_waitcnt lgkmcnt(0)
	v_mul_f64 v[46:47], v[42:43], v[79:80]
	s_delay_alu instid0(VALU_DEP_1) | instskip(SKIP_1) | instid1(VALU_DEP_1)
	v_fma_f64 v[170:171], v[36:37], v[77:78], -v[46:47]
	v_mul_f64 v[36:37], v[36:37], v[79:80]
	v_fma_f64 v[158:159], v[42:43], v[77:78], v[36:37]
	s_waitcnt vmcnt(1)
	v_mul_f64 v[36:37], v[44:45], v[51:52]
	s_delay_alu instid0(VALU_DEP_1) | instskip(SKIP_1) | instid1(VALU_DEP_1)
	v_fma_f64 v[142:143], v[38:39], v[49:50], -v[36:37]
	v_mul_f64 v[36:37], v[38:39], v[51:52]
	v_fma_f64 v[101:102], v[44:45], v[49:50], v[36:37]
	ds_load_2addr_b64 v[36:39], v209 offset0:94 offset1:149
	s_waitcnt lgkmcnt(0)
	v_mul_f64 v[42:43], v[36:37], v[55:56]
	s_delay_alu instid0(VALU_DEP_1) | instskip(SKIP_1) | instid1(VALU_DEP_1)
	v_fma_f64 v[152:153], v[32:33], v[53:54], -v[42:43]
	v_mul_f64 v[32:33], v[32:33], v[55:56]
	v_fma_f64 v[126:127], v[36:37], v[53:54], v[32:33]
	v_and_b32_e32 v32, 0xffff, v186
	s_delay_alu instid0(VALU_DEP_1) | instskip(NEXT) | instid1(VALU_DEP_1)
	v_mul_u32_u24_e32 v32, 0x1a99, v32
	v_lshrrev_b32_e32 v32, 19, v32
	s_delay_alu instid0(VALU_DEP_1) | instskip(NEXT) | instid1(VALU_DEP_1)
	v_mul_lo_u16 v33, 0x4d, v32
	v_sub_nc_u16 v33, v186, v33
	s_delay_alu instid0(VALU_DEP_1) | instskip(NEXT) | instid1(VALU_DEP_1)
	v_and_b32_e32 v33, 0xffff, v33
	v_lshlrev_b32_e32 v46, 6, v33
	s_clause 0x1
	global_load_b128 v[42:45], v46, s[4:5] offset:1136
	global_load_b128 v[49:52], v46, s[4:5] offset:1120
	s_waitcnt vmcnt(1)
	v_mul_f64 v[36:37], v[38:39], v[44:45]
	s_delay_alu instid0(VALU_DEP_1) | instskip(SKIP_1) | instid1(VALU_DEP_1)
	v_fma_f64 v[91:92], v[34:35], v[42:43], -v[36:37]
	v_mul_f64 v[34:35], v[34:35], v[44:45]
	v_fma_f64 v[79:80], v[38:39], v[42:43], v[34:35]
	ds_load_2addr_b64 v[34:37], v210 offset0:96 offset1:151
	s_clause 0x1
	global_load_b128 v[42:45], v46, s[4:5] offset:1168
	global_load_b128 v[53:56], v46, s[4:5] offset:1152
	s_waitcnt lgkmcnt(0)
	v_mul_f64 v[38:39], v[34:35], v[71:72]
	s_delay_alu instid0(VALU_DEP_1) | instskip(SKIP_1) | instid1(VALU_DEP_1)
	v_fma_f64 v[172:173], v[28:29], v[69:70], -v[38:39]
	v_mul_f64 v[28:29], v[28:29], v[71:72]
	v_fma_f64 v[160:161], v[34:35], v[69:70], v[28:29]
	s_waitcnt vmcnt(1)
	v_mul_f64 v[28:29], v[36:37], v[44:45]
	s_delay_alu instid0(VALU_DEP_1) | instskip(SKIP_1) | instid1(VALU_DEP_1)
	v_fma_f64 v[114:115], v[30:31], v[42:43], -v[28:29]
	v_mul_f64 v[28:29], v[30:31], v[44:45]
	v_fma_f64 v[95:96], v[36:37], v[42:43], v[28:29]
	ds_load_2addr_b64 v[28:31], v206 offset0:148 offset1:203
	s_waitcnt lgkmcnt(0)
	v_mul_f64 v[34:35], v[28:29], v[51:52]
	s_delay_alu instid0(VALU_DEP_1) | instskip(SKIP_1) | instid1(VALU_DEP_1)
	v_fma_f64 v[130:131], v[24:25], v[49:50], -v[34:35]
	v_mul_f64 v[24:25], v[24:25], v[51:52]
	v_fma_f64 v[110:111], v[28:29], v[49:50], v[24:25]
	v_and_b32_e32 v24, 0xffff, v255
	s_delay_alu instid0(VALU_DEP_1) | instskip(NEXT) | instid1(VALU_DEP_1)
	v_mul_u32_u24_e32 v24, 0x1a99, v24
	v_lshrrev_b32_e32 v24, 19, v24
	s_delay_alu instid0(VALU_DEP_1) | instskip(NEXT) | instid1(VALU_DEP_1)
	v_mul_lo_u16 v24, 0x4d, v24
	v_sub_nc_u16 v24, v255, v24
	s_delay_alu instid0(VALU_DEP_1) | instskip(NEXT) | instid1(VALU_DEP_1)
	v_and_b32_e32 v28, 0xffff, v24
	v_lshlrev_b32_e32 v29, 6, v28
	s_clause 0x1
	global_load_b128 v[34:37], v29, s[4:5] offset:1120
	global_load_b128 v[42:45], v29, s[4:5] offset:1136
	v_lshl_add_u32 v219, v28, 3, 0
	s_delay_alu instid0(VALU_DEP_1) | instskip(SKIP_2) | instid1(VALU_DEP_1)
	v_add_nc_u32_e32 v220, 0x3000, v219
	s_waitcnt vmcnt(1)
	v_mul_f64 v[24:25], v[30:31], v[36:37]
	v_fma_f64 v[87:88], v[26:27], v[34:35], -v[24:25]
	v_mul_f64 v[24:25], v[26:27], v[36:37]
	s_delay_alu instid0(VALU_DEP_1) | instskip(SKIP_3) | instid1(VALU_DEP_1)
	v_fma_f64 v[77:78], v[30:31], v[34:35], v[24:25]
	ds_load_2addr_b64 v[34:37], v205 offset0:76 offset1:131
	s_waitcnt lgkmcnt(0)
	v_mul_f64 v[24:25], v[36:37], v[182:183]
	v_fma_f64 v[24:25], v[18:19], v[180:181], -v[24:25]
	v_mul_f64 v[18:19], v[18:19], v[182:183]
	s_delay_alu instid0(VALU_DEP_2) | instskip(NEXT) | instid1(VALU_DEP_2)
	v_add_f64 v[195:196], v[144:145], -v[24:25]
	v_fma_f64 v[180:181], v[36:37], v[180:181], v[18:19]
	s_waitcnt vmcnt(0)
	v_mul_f64 v[18:19], v[34:35], v[44:45]
	s_delay_alu instid0(VALU_DEP_1) | instskip(SKIP_1) | instid1(VALU_DEP_1)
	v_fma_f64 v[108:109], v[16:17], v[42:43], -v[18:19]
	v_mul_f64 v[16:17], v[16:17], v[44:45]
	v_fma_f64 v[93:94], v[34:35], v[42:43], v[16:17]
	ds_load_2addr_b64 v[16:19], v207 offset0:150 offset1:205
	s_clause 0x1
	global_load_b128 v[34:37], v29, s[4:5] offset:1152
	global_load_b128 v[42:45], v29, s[4:5] offset:1168
	s_waitcnt lgkmcnt(0)
	v_mul_f64 v[26:27], v[16:17], v[55:56]
	s_delay_alu instid0(VALU_DEP_1)
	v_fma_f64 v[174:175], v[20:21], v[53:54], -v[26:27]
	v_mul_f64 v[20:21], v[20:21], v[55:56]
	ds_load_2addr_b64 v[56:59], v203 offset0:74 offset1:129
	v_add_f64 v[26:27], v[136:137], -v[180:181]
	v_fma_f64 v[166:167], v[16:17], v[53:54], v[20:21]
	v_add_f64 v[20:21], v[144:145], v[24:25]
	s_delay_alu instid0(VALU_DEP_1) | instskip(SKIP_2) | instid1(VALU_DEP_1)
	v_fma_f64 v[20:21], v[20:21], -0.5, v[12:13]
	s_waitcnt vmcnt(1)
	v_mul_f64 v[16:17], v[18:19], v[36:37]
	v_fma_f64 v[138:139], v[22:23], v[34:35], -v[16:17]
	v_mul_f64 v[16:17], v[22:23], v[36:37]
	s_delay_alu instid0(VALU_DEP_1) | instskip(SKIP_3) | instid1(VALU_DEP_1)
	v_fma_f64 v[122:123], v[18:19], v[34:35], v[16:17]
	ds_load_b64 v[16:17], v253 offset:14960
	s_waitcnt vmcnt(0) lgkmcnt(0)
	v_mul_f64 v[18:19], v[16:17], v[44:45]
	v_fma_f64 v[148:149], v[104:105], v[42:43], -v[18:19]
	v_mul_f64 v[18:19], v[104:105], v[44:45]
	s_delay_alu instid0(VALU_DEP_1) | instskip(SKIP_2) | instid1(VALU_DEP_2)
	v_fma_f64 v[103:104], v[16:17], v[42:43], v[18:19]
	v_mul_f64 v[16:17], v[58:59], v[189:190]
	v_add_f64 v[18:19], v[64:65], -v[24:25]
	v_fma_f64 v[16:17], v[2:3], v[187:188], -v[16:17]
	v_mul_f64 v[2:3], v[2:3], v[189:190]
	s_delay_alu instid0(VALU_DEP_2) | instskip(NEXT) | instid1(VALU_DEP_2)
	v_add_f64 v[197:198], v[16:17], -v[64:65]
	v_fma_f64 v[182:183], v[58:59], v[187:188], v[2:3]
	v_add_f64 v[2:3], v[16:17], -v[144:145]
	ds_load_2addr_b64 v[187:190], v253 offset1:55
	ds_load_2addr_b64 v[191:194], v253 offset0:110 offset1:165
	ds_load_2addr_b64 v[70:73], v208 offset0:92 offset1:147
	s_waitcnt lgkmcnt(0)
	s_barrier
	buffer_gl0_inv
	v_add_f64 v[22:23], v[182:183], -v[168:169]
	v_add_f64 v[2:3], v[2:3], v[18:19]
	v_add_f64 v[18:19], v[12:13], v[16:17]
	s_delay_alu instid0(VALU_DEP_3) | instskip(NEXT) | instid1(VALU_DEP_2)
	v_fma_f64 v[29:30], v[22:23], s[6:7], v[20:21]
	v_add_f64 v[18:19], v[18:19], v[144:145]
	s_delay_alu instid0(VALU_DEP_2) | instskip(NEXT) | instid1(VALU_DEP_2)
	v_fma_f64 v[29:30], v[26:27], s[2:3], v[29:30]
	v_add_f64 v[18:19], v[18:19], v[24:25]
	s_delay_alu instid0(VALU_DEP_2) | instskip(NEXT) | instid1(VALU_DEP_2)
	v_fma_f64 v[29:30], v[2:3], s[10:11], v[29:30]
	v_add_f64 v[18:19], v[18:19], v[64:65]
	ds_store_2addr_b64 v253, v[18:19], v[29:30] offset1:77
	v_add_f64 v[18:19], v[144:145], -v[16:17]
	v_add_f64 v[29:30], v[24:25], -v[64:65]
	s_delay_alu instid0(VALU_DEP_1) | instskip(SKIP_1) | instid1(VALU_DEP_1)
	v_add_f64 v[18:19], v[18:19], v[29:30]
	v_add_f64 v[29:30], v[16:17], v[64:65]
	v_fma_f64 v[12:13], v[29:30], -0.5, v[12:13]
	s_delay_alu instid0(VALU_DEP_1) | instskip(SKIP_1) | instid1(VALU_DEP_2)
	v_fma_f64 v[29:30], v[26:27], s[14:15], v[12:13]
	v_fma_f64 v[12:13], v[26:27], s[6:7], v[12:13]
	;; [unrolled: 1-line block ×3, first 2 shown]
	s_delay_alu instid0(VALU_DEP_2) | instskip(NEXT) | instid1(VALU_DEP_2)
	v_fma_f64 v[12:13], v[22:23], s[12:13], v[12:13]
	v_fma_f64 v[29:30], v[18:19], s[10:11], v[29:30]
	s_delay_alu instid0(VALU_DEP_2)
	v_fma_f64 v[12:13], v[18:19], s[10:11], v[12:13]
	v_add_f64 v[18:19], v[116:117], v[178:179]
	ds_store_2addr_b64 v253, v[29:30], v[12:13] offset0:154 offset1:231
	v_fma_f64 v[12:13], v[22:23], s[14:15], v[20:21]
	v_add_f64 v[20:21], v[154:155], v[146:147]
	v_fma_f64 v[18:19], v[18:19], -0.5, v[14:15]
	v_add_f64 v[22:23], v[146:147], -v[178:179]
	s_delay_alu instid0(VALU_DEP_4) | instskip(NEXT) | instid1(VALU_DEP_4)
	v_fma_f64 v[12:13], v[26:27], s[12:13], v[12:13]
	v_fma_f64 v[20:21], v[20:21], -0.5, v[14:15]
	v_add_f64 v[14:15], v[14:15], v[154:155]
	s_delay_alu instid0(VALU_DEP_3)
	v_fma_f64 v[2:3], v[2:3], s[10:11], v[12:13]
	v_add_f64 v[12:13], v[154:155], -v[116:117]
	ds_store_b64 v253, v[2:3] offset:2464
	v_lshlrev_b32_e32 v2, 3, v68
	v_cndmask_b32_e64 v3, 0, 0xc08, s0
	v_add_f64 v[12:13], v[12:13], v[22:23]
	v_add_f64 v[22:23], v[89:90], -v[164:165]
	s_delay_alu instid0(VALU_DEP_3) | instskip(SKIP_2) | instid1(VALU_DEP_2)
	v_add3_u32 v105, 0, v3, v2
	v_add_f64 v[2:3], v[14:15], v[116:117]
	v_add_f64 v[14:15], v[134:135], -v[118:119]
	v_add_f64 v[2:3], v[2:3], v[178:179]
	s_delay_alu instid0(VALU_DEP_2) | instskip(NEXT) | instid1(VALU_DEP_2)
	v_fma_f64 v[26:27], v[14:15], s[6:7], v[18:19]
	v_add_f64 v[2:3], v[2:3], v[146:147]
	s_delay_alu instid0(VALU_DEP_2) | instskip(NEXT) | instid1(VALU_DEP_1)
	v_fma_f64 v[26:27], v[22:23], s[2:3], v[26:27]
	v_fma_f64 v[26:27], v[12:13], s[10:11], v[26:27]
	ds_store_2addr_b64 v105, v[2:3], v[26:27] offset1:77
	v_add_f64 v[2:3], v[116:117], -v[154:155]
	v_add_f64 v[26:27], v[178:179], -v[146:147]
	;; [unrolled: 1-line block ×6, first 2 shown]
	v_add_f64 v[2:3], v[2:3], v[26:27]
	v_fma_f64 v[26:27], v[22:23], s[14:15], v[20:21]
	v_fma_f64 v[20:21], v[22:23], s[6:7], v[20:21]
	s_delay_alu instid0(VALU_DEP_4) | instskip(NEXT) | instid1(VALU_DEP_3)
	v_add_f64 v[154:155], v[154:155], v[178:179]
	v_fma_f64 v[26:27], v[14:15], s[2:3], v[26:27]
	s_delay_alu instid0(VALU_DEP_3) | instskip(NEXT) | instid1(VALU_DEP_2)
	v_fma_f64 v[20:21], v[14:15], s[12:13], v[20:21]
	v_fma_f64 v[26:27], v[2:3], s[10:11], v[26:27]
	s_delay_alu instid0(VALU_DEP_2)
	v_fma_f64 v[2:3], v[2:3], s[10:11], v[20:21]
	v_add_f64 v[20:21], v[132:133], -v[112:113]
	ds_store_2addr_b64 v105, v[26:27], v[2:3] offset0:154 offset1:231
	v_fma_f64 v[2:3], v[14:15], s[14:15], v[18:19]
	v_add_f64 v[14:15], v[176:177], -v[150:151]
	v_add_f64 v[18:19], v[85:86], -v[162:163]
	s_delay_alu instid0(VALU_DEP_3) | instskip(NEXT) | instid1(VALU_DEP_1)
	v_fma_f64 v[2:3], v[22:23], s[12:13], v[2:3]
	v_fma_f64 v[2:3], v[12:13], s[10:11], v[2:3]
	v_add_f64 v[12:13], v[124:125], -v[156:157]
	ds_store_b64 v105, v[2:3] offset:2464
	v_add_f64 v[12:13], v[12:13], v[14:15]
	v_add_f64 v[14:15], v[156:157], v[150:151]
	v_and_b32_e32 v2, 0xffff, v60
	v_lshlrev_b32_e32 v3, 3, v61
	s_delay_alu instid0(VALU_DEP_2) | instskip(NEXT) | instid1(VALU_DEP_1)
	v_mul_u32_u24_e32 v2, 0xc08, v2
	v_add3_u32 v184, 0, v2, v3
	v_add_f64 v[2:3], v[8:9], v[124:125]
	v_fma_f64 v[14:15], v[14:15], -0.5, v[8:9]
	s_delay_alu instid0(VALU_DEP_2) | instskip(NEXT) | instid1(VALU_DEP_2)
	v_add_f64 v[2:3], v[2:3], v[156:157]
	v_fma_f64 v[22:23], v[18:19], s[6:7], v[14:15]
	s_delay_alu instid0(VALU_DEP_2) | instskip(NEXT) | instid1(VALU_DEP_2)
	v_add_f64 v[2:3], v[2:3], v[150:151]
	v_fma_f64 v[22:23], v[20:21], s[2:3], v[22:23]
	;; [unrolled: 3-line block ×3, first 2 shown]
	ds_store_2addr_b64 v184, v[2:3], v[22:23] offset1:77
	v_add_f64 v[2:3], v[156:157], -v[124:125]
	v_add_f64 v[22:23], v[150:151], -v[176:177]
	s_delay_alu instid0(VALU_DEP_1) | instskip(SKIP_1) | instid1(VALU_DEP_1)
	v_add_f64 v[2:3], v[2:3], v[22:23]
	v_add_f64 v[22:23], v[124:125], v[176:177]
	v_fma_f64 v[8:9], v[22:23], -0.5, v[8:9]
	s_delay_alu instid0(VALU_DEP_1) | instskip(SKIP_1) | instid1(VALU_DEP_2)
	v_fma_f64 v[22:23], v[20:21], s[14:15], v[8:9]
	v_fma_f64 v[8:9], v[20:21], s[6:7], v[8:9]
	v_fma_f64 v[22:23], v[18:19], s[2:3], v[22:23]
	s_delay_alu instid0(VALU_DEP_2) | instskip(NEXT) | instid1(VALU_DEP_2)
	v_fma_f64 v[8:9], v[18:19], s[12:13], v[8:9]
	v_fma_f64 v[22:23], v[2:3], s[10:11], v[22:23]
	s_delay_alu instid0(VALU_DEP_2)
	v_fma_f64 v[2:3], v[2:3], s[10:11], v[8:9]
	v_add_f64 v[8:9], v[97:98], v[170:171]
	ds_store_2addr_b64 v184, v[22:23], v[2:3] offset0:154 offset1:231
	v_fma_f64 v[2:3], v[18:19], s[14:15], v[14:15]
	v_add_f64 v[14:15], v[140:141], v[128:129]
	v_fma_f64 v[8:9], v[8:9], -0.5, v[10:11]
	v_add_f64 v[18:19], v[128:129], -v[170:171]
	s_delay_alu instid0(VALU_DEP_4) | instskip(NEXT) | instid1(VALU_DEP_4)
	v_fma_f64 v[2:3], v[20:21], s[12:13], v[2:3]
	v_fma_f64 v[14:15], v[14:15], -0.5, v[10:11]
	v_add_f64 v[10:11], v[10:11], v[140:141]
	s_delay_alu instid0(VALU_DEP_3)
	v_fma_f64 v[2:3], v[12:13], s[10:11], v[2:3]
	v_add_f64 v[12:13], v[140:141], -v[97:98]
	ds_store_b64 v184, v[2:3] offset:2464
	v_add_f64 v[2:3], v[10:11], v[97:98]
	v_add_f64 v[10:11], v[120:121], -v[99:100]
	v_add_f64 v[12:13], v[12:13], v[18:19]
	v_add_f64 v[18:19], v[83:84], -v[158:159]
	s_delay_alu instid0(VALU_DEP_4) | instskip(NEXT) | instid1(VALU_DEP_4)
	v_add_f64 v[2:3], v[2:3], v[170:171]
	v_fma_f64 v[20:21], v[10:11], s[6:7], v[8:9]
	s_delay_alu instid0(VALU_DEP_2) | instskip(NEXT) | instid1(VALU_DEP_2)
	v_add_f64 v[2:3], v[2:3], v[128:129]
	v_fma_f64 v[20:21], v[18:19], s[2:3], v[20:21]
	s_delay_alu instid0(VALU_DEP_1) | instskip(SKIP_4) | instid1(VALU_DEP_2)
	v_fma_f64 v[20:21], v[12:13], s[10:11], v[20:21]
	ds_store_2addr_b64 v201, v[2:3], v[20:21] offset0:2 offset1:79
	v_add_f64 v[2:3], v[97:98], -v[140:141]
	v_add_f64 v[20:21], v[170:171], -v[128:129]
	;; [unrolled: 1-line block ×3, first 2 shown]
	v_add_f64 v[2:3], v[2:3], v[20:21]
	v_fma_f64 v[20:21], v[18:19], s[14:15], v[14:15]
	v_fma_f64 v[14:15], v[18:19], s[6:7], v[14:15]
	s_delay_alu instid0(VALU_DEP_2) | instskip(NEXT) | instid1(VALU_DEP_2)
	v_fma_f64 v[20:21], v[10:11], s[2:3], v[20:21]
	v_fma_f64 v[14:15], v[10:11], s[12:13], v[14:15]
	s_delay_alu instid0(VALU_DEP_2) | instskip(NEXT) | instid1(VALU_DEP_2)
	v_fma_f64 v[20:21], v[2:3], s[10:11], v[20:21]
	v_fma_f64 v[2:3], v[2:3], s[10:11], v[14:15]
	v_add_f64 v[14:15], v[126:127], -v[101:102]
	ds_store_2addr_b64 v201, v[20:21], v[2:3] offset0:156 offset1:233
	v_fma_f64 v[2:3], v[10:11], s[14:15], v[8:9]
	v_add_f64 v[8:9], v[106:107], -v[152:153]
	v_add_f64 v[10:11], v[172:173], -v[142:143]
	s_delay_alu instid0(VALU_DEP_3) | instskip(NEXT) | instid1(VALU_DEP_2)
	v_fma_f64 v[2:3], v[18:19], s[12:13], v[2:3]
	v_add_f64 v[8:9], v[8:9], v[10:11]
	v_add_f64 v[10:11], v[152:153], v[142:143]
	s_delay_alu instid0(VALU_DEP_3) | instskip(SKIP_1) | instid1(VALU_DEP_3)
	v_fma_f64 v[2:3], v[12:13], s[10:11], v[2:3]
	v_add_f64 v[12:13], v[81:82], -v[160:161]
	v_fma_f64 v[10:11], v[10:11], -0.5, v[4:5]
	ds_store_b64 v185, v[2:3] offset:8624
	v_mul_u32_u24_e32 v2, 0xc08, v40
	v_lshlrev_b32_e32 v3, 3, v41
	v_fma_f64 v[18:19], v[12:13], s[6:7], v[10:11]
	s_delay_alu instid0(VALU_DEP_2) | instskip(SKIP_1) | instid1(VALU_DEP_3)
	v_add3_u32 v217, 0, v2, v3
	v_add_f64 v[2:3], v[4:5], v[106:107]
	v_fma_f64 v[18:19], v[14:15], s[2:3], v[18:19]
	s_delay_alu instid0(VALU_DEP_2) | instskip(NEXT) | instid1(VALU_DEP_2)
	v_add_f64 v[2:3], v[2:3], v[152:153]
	v_fma_f64 v[18:19], v[8:9], s[10:11], v[18:19]
	s_delay_alu instid0(VALU_DEP_2) | instskip(NEXT) | instid1(VALU_DEP_1)
	v_add_f64 v[2:3], v[2:3], v[142:143]
	v_add_f64 v[2:3], v[2:3], v[172:173]
	ds_store_2addr_b64 v217, v[2:3], v[18:19] offset1:77
	v_add_f64 v[2:3], v[152:153], -v[106:107]
	v_add_f64 v[18:19], v[142:143], -v[172:173]
	s_delay_alu instid0(VALU_DEP_1) | instskip(SKIP_1) | instid1(VALU_DEP_1)
	v_add_f64 v[2:3], v[2:3], v[18:19]
	v_add_f64 v[18:19], v[106:107], v[172:173]
	v_fma_f64 v[4:5], v[18:19], -0.5, v[4:5]
	s_delay_alu instid0(VALU_DEP_1) | instskip(SKIP_1) | instid1(VALU_DEP_2)
	v_fma_f64 v[18:19], v[14:15], s[14:15], v[4:5]
	v_fma_f64 v[4:5], v[14:15], s[6:7], v[4:5]
	;; [unrolled: 1-line block ×3, first 2 shown]
	s_delay_alu instid0(VALU_DEP_2) | instskip(NEXT) | instid1(VALU_DEP_2)
	v_fma_f64 v[4:5], v[12:13], s[12:13], v[4:5]
	v_fma_f64 v[18:19], v[2:3], s[10:11], v[18:19]
	s_delay_alu instid0(VALU_DEP_2)
	v_fma_f64 v[2:3], v[2:3], s[10:11], v[4:5]
	v_add_f64 v[4:5], v[91:92], v[174:175]
	ds_store_2addr_b64 v217, v[18:19], v[2:3] offset0:154 offset1:231
	v_fma_f64 v[2:3], v[12:13], s[14:15], v[10:11]
	v_add_f64 v[10:11], v[130:131], v[114:115]
	v_fma_f64 v[4:5], v[4:5], -0.5, v[6:7]
	v_add_f64 v[12:13], v[114:115], -v[174:175]
	s_delay_alu instid0(VALU_DEP_4) | instskip(NEXT) | instid1(VALU_DEP_4)
	v_fma_f64 v[2:3], v[14:15], s[12:13], v[2:3]
	v_fma_f64 v[10:11], v[10:11], -0.5, v[6:7]
	v_add_f64 v[6:7], v[6:7], v[130:131]
	s_delay_alu instid0(VALU_DEP_3)
	v_fma_f64 v[2:3], v[8:9], s[10:11], v[2:3]
	v_add_f64 v[8:9], v[130:131], -v[91:92]
	ds_store_b64 v217, v[2:3] offset:2464
	v_mul_u32_u24_e32 v2, 0xc08, v32
	v_lshlrev_b32_e32 v3, 3, v33
	v_add_f64 v[8:9], v[8:9], v[12:13]
	v_add_f64 v[12:13], v[79:80], -v[166:167]
	s_delay_alu instid0(VALU_DEP_3) | instskip(SKIP_2) | instid1(VALU_DEP_2)
	v_add3_u32 v218, 0, v2, v3
	v_add_f64 v[2:3], v[6:7], v[91:92]
	v_add_f64 v[6:7], v[110:111], -v[95:96]
	v_add_f64 v[2:3], v[2:3], v[174:175]
	s_delay_alu instid0(VALU_DEP_2) | instskip(NEXT) | instid1(VALU_DEP_2)
	v_fma_f64 v[14:15], v[6:7], s[6:7], v[4:5]
	v_add_f64 v[2:3], v[2:3], v[114:115]
	s_delay_alu instid0(VALU_DEP_2) | instskip(NEXT) | instid1(VALU_DEP_1)
	v_fma_f64 v[14:15], v[12:13], s[2:3], v[14:15]
	v_fma_f64 v[14:15], v[8:9], s[10:11], v[14:15]
	ds_store_2addr_b64 v218, v[2:3], v[14:15] offset1:77
	v_add_f64 v[2:3], v[91:92], -v[130:131]
	v_add_f64 v[14:15], v[174:175], -v[114:115]
	s_delay_alu instid0(VALU_DEP_1) | instskip(SKIP_2) | instid1(VALU_DEP_2)
	v_add_f64 v[2:3], v[2:3], v[14:15]
	v_fma_f64 v[14:15], v[12:13], s[14:15], v[10:11]
	v_fma_f64 v[10:11], v[12:13], s[6:7], v[10:11]
	;; [unrolled: 1-line block ×3, first 2 shown]
	s_delay_alu instid0(VALU_DEP_2) | instskip(NEXT) | instid1(VALU_DEP_2)
	v_fma_f64 v[10:11], v[6:7], s[12:13], v[10:11]
	v_fma_f64 v[14:15], v[2:3], s[10:11], v[14:15]
	s_delay_alu instid0(VALU_DEP_2)
	v_fma_f64 v[2:3], v[2:3], s[10:11], v[10:11]
	v_add_f64 v[10:11], v[148:149], -v[138:139]
	ds_store_2addr_b64 v218, v[14:15], v[2:3] offset0:154 offset1:231
	v_fma_f64 v[2:3], v[6:7], s[14:15], v[4:5]
	v_add_f64 v[4:5], v[108:109], v[138:139]
	v_add_f64 v[6:7], v[87:88], v[148:149]
	s_delay_alu instid0(VALU_DEP_3) | instskip(NEXT) | instid1(VALU_DEP_3)
	v_fma_f64 v[2:3], v[12:13], s[12:13], v[2:3]
	v_fma_f64 v[4:5], v[4:5], -0.5, v[0:1]
	s_delay_alu instid0(VALU_DEP_3) | instskip(SKIP_1) | instid1(VALU_DEP_4)
	v_fma_f64 v[6:7], v[6:7], -0.5, v[0:1]
	v_add_f64 v[0:1], v[0:1], v[87:88]
	v_fma_f64 v[2:3], v[8:9], s[10:11], v[2:3]
	v_add_f64 v[8:9], v[87:88], -v[108:109]
	s_delay_alu instid0(VALU_DEP_3)
	v_add_f64 v[0:1], v[0:1], v[108:109]
	ds_store_b64 v218, v[2:3] offset:2464
	v_add_f64 v[2:3], v[77:78], -v[103:104]
	v_add_f64 v[8:9], v[8:9], v[10:11]
	v_add_f64 v[10:11], v[93:94], -v[122:123]
	v_add_f64 v[0:1], v[0:1], v[138:139]
	s_delay_alu instid0(VALU_DEP_4) | instskip(NEXT) | instid1(VALU_DEP_2)
	v_fma_f64 v[12:13], v[2:3], s[6:7], v[4:5]
	v_add_f64 v[0:1], v[0:1], v[148:149]
	s_delay_alu instid0(VALU_DEP_2) | instskip(NEXT) | instid1(VALU_DEP_1)
	v_fma_f64 v[12:13], v[10:11], s[2:3], v[12:13]
	v_fma_f64 v[12:13], v[8:9], s[10:11], v[12:13]
	ds_store_2addr_b64 v220, v[0:1], v[12:13] offset0:4 offset1:81
	v_add_f64 v[0:1], v[108:109], -v[87:88]
	v_add_f64 v[12:13], v[138:139], -v[148:149]
	s_delay_alu instid0(VALU_DEP_1) | instskip(SKIP_2) | instid1(VALU_DEP_2)
	v_add_f64 v[0:1], v[0:1], v[12:13]
	v_fma_f64 v[12:13], v[10:11], s[14:15], v[6:7]
	v_fma_f64 v[6:7], v[10:11], s[6:7], v[6:7]
	;; [unrolled: 1-line block ×3, first 2 shown]
	s_delay_alu instid0(VALU_DEP_2) | instskip(NEXT) | instid1(VALU_DEP_2)
	v_fma_f64 v[6:7], v[2:3], s[12:13], v[6:7]
	v_fma_f64 v[12:13], v[0:1], s[10:11], v[12:13]
	s_delay_alu instid0(VALU_DEP_2) | instskip(SKIP_4) | instid1(VALU_DEP_3)
	v_fma_f64 v[0:1], v[0:1], s[10:11], v[6:7]
	ds_store_2addr_b64 v220, v[12:13], v[0:1] offset0:158 offset1:235
	v_fma_f64 v[0:1], v[2:3], s[14:15], v[4:5]
	v_add_f64 v[2:3], v[182:183], -v[136:137]
	v_add_f64 v[4:5], v[168:169], -v[180:181]
	v_fma_f64 v[0:1], v[10:11], s[12:13], v[0:1]
	s_delay_alu instid0(VALU_DEP_2) | instskip(SKIP_1) | instid1(VALU_DEP_3)
	v_add_f64 v[199:200], v[2:3], v[4:5]
	v_add_f64 v[2:3], v[136:137], v[180:181]
	v_fma_f64 v[0:1], v[8:9], s[10:11], v[0:1]
	s_delay_alu instid0(VALU_DEP_2)
	v_fma_f64 v[211:212], v[2:3], -0.5, v[187:188]
	ds_store_b64 v219, v[0:1] offset:14784
	v_add_f64 v[0:1], v[187:188], v[182:183]
	s_waitcnt lgkmcnt(0)
	v_fma_f64 v[2:3], v[197:198], s[14:15], v[211:212]
	s_barrier
	buffer_gl0_inv
	v_add_f64 v[0:1], v[0:1], v[136:137]
	v_add_f64 v[136:137], v[136:137], -v[182:183]
	v_fma_f64 v[2:3], v[195:196], s[12:13], v[2:3]
	s_delay_alu instid0(VALU_DEP_3) | instskip(SKIP_1) | instid1(VALU_DEP_3)
	v_add_f64 v[0:1], v[0:1], v[180:181]
	v_add_f64 v[180:181], v[180:181], -v[168:169]
	v_fma_f64 v[215:216], v[199:200], s[10:11], v[2:3]
	s_delay_alu instid0(VALU_DEP_3) | instskip(SKIP_1) | instid1(VALU_DEP_4)
	v_add_f64 v[213:214], v[0:1], v[168:169]
	v_add_f64 v[168:169], v[182:183], v[168:169]
	;; [unrolled: 1-line block ×3, first 2 shown]
	ds_load_b64 v[144:145], v253 offset:14960
	ds_load_2addr_b64 v[12:15], v203 offset0:74 offset1:129
	ds_load_2addr_b64 v[20:23], v203 offset0:184 offset1:239
	;; [unrolled: 1-line block ×15, first 2 shown]
	ds_load_2addr_b64 v[0:3], v253 offset1:55
	ds_load_2addr_b64 v[4:7], v253 offset0:110 offset1:165
	s_waitcnt lgkmcnt(0)
	s_barrier
	buffer_gl0_inv
	v_add_f64 v[182:183], v[189:190], v[134:135]
	ds_store_2addr_b64 v253, v[213:214], v[215:216] offset1:77
	v_fma_f64 v[168:169], v[168:169], -0.5, v[187:188]
	s_delay_alu instid0(VALU_DEP_1) | instskip(SKIP_1) | instid1(VALU_DEP_2)
	v_fma_f64 v[180:181], v[195:196], s[6:7], v[168:169]
	v_fma_f64 v[168:169], v[195:196], s[14:15], v[168:169]
	;; [unrolled: 1-line block ×3, first 2 shown]
	s_delay_alu instid0(VALU_DEP_2) | instskip(NEXT) | instid1(VALU_DEP_2)
	v_fma_f64 v[168:169], v[197:198], s[2:3], v[168:169]
	v_fma_f64 v[180:181], v[136:137], s[10:11], v[180:181]
	s_delay_alu instid0(VALU_DEP_2)
	v_fma_f64 v[136:137], v[136:137], s[10:11], v[168:169]
	v_add_f64 v[168:169], v[89:90], v[164:165]
	ds_store_2addr_b64 v253, v[180:181], v[136:137] offset0:154 offset1:231
	v_fma_f64 v[136:137], v[197:198], s[6:7], v[211:212]
	v_add_f64 v[180:181], v[134:135], v[118:119]
	v_fma_f64 v[168:169], v[168:169], -0.5, v[189:190]
	s_delay_alu instid0(VALU_DEP_3) | instskip(NEXT) | instid1(VALU_DEP_3)
	v_fma_f64 v[136:137], v[195:196], s[2:3], v[136:137]
	v_fma_f64 v[180:181], v[180:181], -0.5, v[189:190]
	s_delay_alu instid0(VALU_DEP_3) | instskip(NEXT) | instid1(VALU_DEP_3)
	v_fma_f64 v[178:179], v[146:147], s[14:15], v[168:169]
	v_fma_f64 v[136:137], v[199:200], s[10:11], v[136:137]
	s_delay_alu instid0(VALU_DEP_2)
	v_fma_f64 v[178:179], v[116:117], s[12:13], v[178:179]
	ds_store_b64 v253, v[136:137] offset:2464
	v_add_f64 v[136:137], v[182:183], v[89:90]
	v_add_f64 v[89:90], v[89:90], -v[134:135]
	v_fma_f64 v[134:135], v[116:117], s[14:15], v[180:181]
	v_fma_f64 v[178:179], v[154:155], s[10:11], v[178:179]
	s_delay_alu instid0(VALU_DEP_4) | instskip(NEXT) | instid1(VALU_DEP_3)
	v_add_f64 v[136:137], v[136:137], v[164:165]
	v_fma_f64 v[134:135], v[146:147], s[2:3], v[134:135]
	s_delay_alu instid0(VALU_DEP_2) | instskip(SKIP_4) | instid1(VALU_DEP_1)
	v_add_f64 v[136:137], v[136:137], v[118:119]
	v_add_f64 v[118:119], v[164:165], -v[118:119]
	ds_store_2addr_b64 v105, v[136:137], v[178:179] offset1:77
	v_add_f64 v[89:90], v[89:90], v[118:119]
	v_fma_f64 v[118:119], v[116:117], s[6:7], v[180:181]
	v_fma_f64 v[118:119], v[146:147], s[12:13], v[118:119]
	s_delay_alu instid0(VALU_DEP_1)
	v_fma_f64 v[118:119], v[89:90], s[10:11], v[118:119]
	v_fma_f64 v[89:90], v[89:90], s[10:11], v[134:135]
	v_add_f64 v[134:135], v[132:133], v[112:113]
	ds_store_2addr_b64 v105, v[118:119], v[89:90] offset0:154 offset1:231
	v_fma_f64 v[89:90], v[146:147], s[6:7], v[168:169]
	v_add_f64 v[118:119], v[85:86], -v[132:133]
	v_fma_f64 v[134:135], v[134:135], -0.5, v[191:192]
	s_delay_alu instid0(VALU_DEP_3) | instskip(SKIP_2) | instid1(VALU_DEP_3)
	v_fma_f64 v[89:90], v[116:117], s[2:3], v[89:90]
	v_add_f64 v[116:117], v[124:125], -v[176:177]
	v_add_f64 v[124:125], v[162:163], -v[112:113]
	v_fma_f64 v[89:90], v[154:155], s[10:11], v[89:90]
	s_delay_alu instid0(VALU_DEP_3) | instskip(NEXT) | instid1(VALU_DEP_3)
	v_fma_f64 v[136:137], v[116:117], s[14:15], v[134:135]
	v_add_f64 v[118:119], v[118:119], v[124:125]
	v_add_f64 v[124:125], v[191:192], v[85:86]
	ds_store_b64 v105, v[89:90] offset:2464
	v_add_f64 v[89:90], v[156:157], -v[150:151]
	v_add_f64 v[124:125], v[124:125], v[132:133]
	s_delay_alu instid0(VALU_DEP_2) | instskip(NEXT) | instid1(VALU_DEP_2)
	v_fma_f64 v[136:137], v[89:90], s[12:13], v[136:137]
	v_add_f64 v[124:125], v[124:125], v[112:113]
	v_add_f64 v[112:113], v[112:113], -v[162:163]
	s_delay_alu instid0(VALU_DEP_3) | instskip(NEXT) | instid1(VALU_DEP_3)
	v_fma_f64 v[136:137], v[118:119], s[10:11], v[136:137]
	v_add_f64 v[124:125], v[124:125], v[162:163]
	ds_store_2addr_b64 v184, v[124:125], v[136:137] offset1:77
	v_add_f64 v[124:125], v[132:133], -v[85:86]
	v_add_f64 v[85:86], v[85:86], v[162:163]
	s_delay_alu instid0(VALU_DEP_2) | instskip(NEXT) | instid1(VALU_DEP_2)
	v_add_f64 v[112:113], v[124:125], v[112:113]
	v_fma_f64 v[85:86], v[85:86], -0.5, v[191:192]
	s_delay_alu instid0(VALU_DEP_1) | instskip(SKIP_1) | instid1(VALU_DEP_2)
	v_fma_f64 v[124:125], v[89:90], s[6:7], v[85:86]
	v_fma_f64 v[85:86], v[89:90], s[14:15], v[85:86]
	;; [unrolled: 1-line block ×3, first 2 shown]
	s_delay_alu instid0(VALU_DEP_2) | instskip(NEXT) | instid1(VALU_DEP_2)
	v_fma_f64 v[85:86], v[116:117], s[2:3], v[85:86]
	v_fma_f64 v[124:125], v[112:113], s[10:11], v[124:125]
	s_delay_alu instid0(VALU_DEP_2)
	v_fma_f64 v[85:86], v[112:113], s[10:11], v[85:86]
	v_add_f64 v[112:113], v[193:194], v[120:121]
	ds_store_2addr_b64 v184, v[124:125], v[85:86] offset0:154 offset1:231
	v_fma_f64 v[85:86], v[116:117], s[6:7], v[134:135]
	v_add_f64 v[112:113], v[112:113], v[83:84]
	v_add_f64 v[124:125], v[99:100], -v[158:159]
	v_add_f64 v[116:117], v[140:141], -v[128:129]
	s_delay_alu instid0(VALU_DEP_4) | instskip(SKIP_2) | instid1(VALU_DEP_3)
	v_fma_f64 v[85:86], v[89:90], s[2:3], v[85:86]
	v_add_f64 v[89:90], v[120:121], v[99:100]
	v_add_f64 v[112:113], v[112:113], v[158:159]
	v_fma_f64 v[85:86], v[118:119], s[10:11], v[85:86]
	s_delay_alu instid0(VALU_DEP_3) | instskip(SKIP_1) | instid1(VALU_DEP_4)
	v_fma_f64 v[89:90], v[89:90], -0.5, v[193:194]
	v_add_f64 v[118:119], v[120:121], -v[83:84]
	v_add_f64 v[112:113], v[112:113], v[99:100]
	v_add_f64 v[99:100], v[158:159], -v[99:100]
	ds_store_b64 v184, v[85:86] offset:2464
	v_add_f64 v[85:86], v[83:84], v[158:159]
	v_add_f64 v[83:84], v[83:84], -v[120:121]
	v_add_f64 v[118:119], v[118:119], v[124:125]
	s_delay_alu instid0(VALU_DEP_3) | instskip(NEXT) | instid1(VALU_DEP_3)
	v_fma_f64 v[85:86], v[85:86], -0.5, v[193:194]
	v_add_f64 v[83:84], v[83:84], v[99:100]
	v_fma_f64 v[99:100], v[97:98], s[6:7], v[89:90]
	v_fma_f64 v[89:90], v[97:98], s[14:15], v[89:90]
	s_delay_alu instid0(VALU_DEP_4) | instskip(NEXT) | instid1(VALU_DEP_3)
	v_fma_f64 v[124:125], v[116:117], s[14:15], v[85:86]
	v_fma_f64 v[99:100], v[116:117], s[12:13], v[99:100]
	s_delay_alu instid0(VALU_DEP_3) | instskip(NEXT) | instid1(VALU_DEP_3)
	v_fma_f64 v[89:90], v[116:117], s[2:3], v[89:90]
	v_fma_f64 v[124:125], v[97:98], s[12:13], v[124:125]
	s_delay_alu instid0(VALU_DEP_3) | instskip(NEXT) | instid1(VALU_DEP_3)
	v_fma_f64 v[99:100], v[83:84], s[10:11], v[99:100]
	v_fma_f64 v[83:84], v[83:84], s[10:11], v[89:90]
	v_add_f64 v[89:90], v[81:82], -v[126:127]
	s_delay_alu instid0(VALU_DEP_4)
	v_fma_f64 v[124:125], v[118:119], s[10:11], v[124:125]
	ds_store_2addr_b64 v201, v[99:100], v[83:84] offset0:156 offset1:233
	v_fma_f64 v[83:84], v[116:117], s[6:7], v[85:86]
	v_add_f64 v[99:100], v[126:127], v[101:102]
	v_add_f64 v[85:86], v[106:107], -v[172:173]
	ds_store_2addr_b64 v201, v[112:113], v[124:125] offset0:2 offset1:79
	v_fma_f64 v[83:84], v[97:98], s[2:3], v[83:84]
	v_add_f64 v[97:98], v[160:161], -v[101:102]
	v_fma_f64 v[99:100], v[99:100], -0.5, v[70:71]
	s_delay_alu instid0(VALU_DEP_3) | instskip(NEXT) | instid1(VALU_DEP_3)
	v_fma_f64 v[83:84], v[118:119], s[10:11], v[83:84]
	v_add_f64 v[89:90], v[89:90], v[97:98]
	v_add_f64 v[97:98], v[70:71], v[81:82]
	s_delay_alu instid0(VALU_DEP_4) | instskip(SKIP_3) | instid1(VALU_DEP_2)
	v_fma_f64 v[105:106], v[85:86], s[14:15], v[99:100]
	ds_store_b64 v185, v[83:84] offset:8624
	v_add_f64 v[83:84], v[152:153], -v[142:143]
	v_add_f64 v[97:98], v[97:98], v[126:127]
	v_fma_f64 v[105:106], v[83:84], s[12:13], v[105:106]
	s_delay_alu instid0(VALU_DEP_2) | instskip(SKIP_1) | instid1(VALU_DEP_3)
	v_add_f64 v[97:98], v[97:98], v[101:102]
	v_add_f64 v[101:102], v[101:102], -v[160:161]
	v_fma_f64 v[105:106], v[89:90], s[10:11], v[105:106]
	s_delay_alu instid0(VALU_DEP_3) | instskip(SKIP_3) | instid1(VALU_DEP_2)
	v_add_f64 v[97:98], v[97:98], v[160:161]
	ds_store_2addr_b64 v217, v[97:98], v[105:106] offset1:77
	v_add_f64 v[97:98], v[126:127], -v[81:82]
	v_add_f64 v[81:82], v[81:82], v[160:161]
	v_add_f64 v[97:98], v[97:98], v[101:102]
	s_delay_alu instid0(VALU_DEP_2) | instskip(NEXT) | instid1(VALU_DEP_1)
	v_fma_f64 v[70:71], v[81:82], -0.5, v[70:71]
	v_fma_f64 v[81:82], v[83:84], s[6:7], v[70:71]
	v_fma_f64 v[70:71], v[83:84], s[14:15], v[70:71]
	s_delay_alu instid0(VALU_DEP_2) | instskip(NEXT) | instid1(VALU_DEP_2)
	v_fma_f64 v[81:82], v[85:86], s[12:13], v[81:82]
	v_fma_f64 v[70:71], v[85:86], s[2:3], v[70:71]
	s_delay_alu instid0(VALU_DEP_2) | instskip(NEXT) | instid1(VALU_DEP_2)
	v_fma_f64 v[81:82], v[97:98], s[10:11], v[81:82]
	v_fma_f64 v[70:71], v[97:98], s[10:11], v[70:71]
	ds_store_2addr_b64 v217, v[81:82], v[70:71] offset0:154 offset1:231
	v_fma_f64 v[70:71], v[85:86], s[6:7], v[99:100]
	v_add_f64 v[81:82], v[110:111], v[95:96]
	v_add_f64 v[85:86], v[95:96], -v[166:167]
	s_delay_alu instid0(VALU_DEP_3) | instskip(NEXT) | instid1(VALU_DEP_3)
	v_fma_f64 v[70:71], v[83:84], s[2:3], v[70:71]
	v_fma_f64 v[81:82], v[81:82], -0.5, v[72:73]
	v_add_f64 v[83:84], v[110:111], -v[79:80]
	s_delay_alu instid0(VALU_DEP_3) | instskip(SKIP_1) | instid1(VALU_DEP_3)
	v_fma_f64 v[70:71], v[89:90], s[10:11], v[70:71]
	v_add_f64 v[89:90], v[130:131], -v[114:115]
	v_add_f64 v[83:84], v[83:84], v[85:86]
	v_add_f64 v[85:86], v[91:92], -v[174:175]
	ds_store_b64 v217, v[70:71] offset:2464
	v_add_f64 v[70:71], v[79:80], v[166:167]
	s_delay_alu instid0(VALU_DEP_1) | instskip(SKIP_1) | instid1(VALU_DEP_2)
	v_fma_f64 v[70:71], v[70:71], -0.5, v[72:73]
	v_add_f64 v[72:73], v[72:73], v[110:111]
	v_fma_f64 v[91:92], v[89:90], s[14:15], v[70:71]
	s_delay_alu instid0(VALU_DEP_2) | instskip(SKIP_1) | instid1(VALU_DEP_3)
	v_add_f64 v[72:73], v[72:73], v[79:80]
	v_fma_f64 v[70:71], v[89:90], s[6:7], v[70:71]
	v_fma_f64 v[91:92], v[85:86], s[12:13], v[91:92]
	s_delay_alu instid0(VALU_DEP_3) | instskip(NEXT) | instid1(VALU_DEP_3)
	v_add_f64 v[72:73], v[72:73], v[166:167]
	v_fma_f64 v[70:71], v[85:86], s[2:3], v[70:71]
	s_delay_alu instid0(VALU_DEP_3) | instskip(NEXT) | instid1(VALU_DEP_3)
	v_fma_f64 v[91:92], v[83:84], s[10:11], v[91:92]
	v_add_f64 v[72:73], v[72:73], v[95:96]
	s_delay_alu instid0(VALU_DEP_3)
	v_fma_f64 v[70:71], v[83:84], s[10:11], v[70:71]
	v_add_f64 v[83:84], v[87:88], -v[148:149]
	ds_store_2addr_b64 v218, v[72:73], v[91:92] offset1:77
	v_add_f64 v[72:73], v[79:80], -v[110:111]
	v_add_f64 v[79:80], v[166:167], -v[95:96]
	ds_store_b64 v218, v[70:71] offset:2464
	v_add_f64 v[70:71], v[93:94], v[122:123]
	v_add_f64 v[72:73], v[72:73], v[79:80]
	v_fma_f64 v[79:80], v[85:86], s[6:7], v[81:82]
	v_fma_f64 v[81:82], v[85:86], s[14:15], v[81:82]
	s_delay_alu instid0(VALU_DEP_4) | instskip(NEXT) | instid1(VALU_DEP_3)
	v_fma_f64 v[70:71], v[70:71], -0.5, v[56:57]
	v_fma_f64 v[79:80], v[89:90], s[12:13], v[79:80]
	s_delay_alu instid0(VALU_DEP_3) | instskip(NEXT) | instid1(VALU_DEP_3)
	v_fma_f64 v[81:82], v[89:90], s[2:3], v[81:82]
	v_fma_f64 v[85:86], v[83:84], s[14:15], v[70:71]
	s_delay_alu instid0(VALU_DEP_3) | instskip(NEXT) | instid1(VALU_DEP_3)
	v_fma_f64 v[79:80], v[72:73], s[10:11], v[79:80]
	v_fma_f64 v[72:73], v[72:73], s[10:11], v[81:82]
	v_add_f64 v[81:82], v[103:104], -v[122:123]
	ds_store_2addr_b64 v218, v[79:80], v[72:73] offset0:154 offset1:231
	v_add_f64 v[72:73], v[77:78], v[103:104]
	v_add_f64 v[79:80], v[77:78], -v[93:94]
	s_delay_alu instid0(VALU_DEP_2) | instskip(SKIP_1) | instid1(VALU_DEP_3)
	v_fma_f64 v[72:73], v[72:73], -0.5, v[56:57]
	v_add_f64 v[56:57], v[56:57], v[77:78]
	v_add_f64 v[79:80], v[79:80], v[81:82]
	v_add_f64 v[81:82], v[108:109], -v[138:139]
	s_delay_alu instid0(VALU_DEP_3) | instskip(NEXT) | instid1(VALU_DEP_2)
	v_add_f64 v[56:57], v[56:57], v[93:94]
	v_fma_f64 v[85:86], v[81:82], s[12:13], v[85:86]
	s_delay_alu instid0(VALU_DEP_2) | instskip(NEXT) | instid1(VALU_DEP_2)
	v_add_f64 v[56:57], v[56:57], v[122:123]
	v_fma_f64 v[85:86], v[79:80], s[10:11], v[85:86]
	s_delay_alu instid0(VALU_DEP_2) | instskip(SKIP_3) | instid1(VALU_DEP_1)
	v_add_f64 v[56:57], v[56:57], v[103:104]
	ds_store_2addr_b64 v220, v[56:57], v[85:86] offset0:4 offset1:81
	v_add_f64 v[56:57], v[93:94], -v[77:78]
	v_add_f64 v[77:78], v[122:123], -v[103:104]
	v_add_f64 v[56:57], v[56:57], v[77:78]
	v_fma_f64 v[77:78], v[81:82], s[6:7], v[72:73]
	v_fma_f64 v[72:73], v[81:82], s[14:15], v[72:73]
	s_delay_alu instid0(VALU_DEP_2) | instskip(NEXT) | instid1(VALU_DEP_2)
	v_fma_f64 v[77:78], v[83:84], s[12:13], v[77:78]
	v_fma_f64 v[72:73], v[83:84], s[2:3], v[72:73]
	s_delay_alu instid0(VALU_DEP_2) | instskip(NEXT) | instid1(VALU_DEP_2)
	v_fma_f64 v[77:78], v[56:57], s[10:11], v[77:78]
	v_fma_f64 v[56:57], v[56:57], s[10:11], v[72:73]
	ds_store_2addr_b64 v220, v[77:78], v[56:57] offset0:158 offset1:235
	v_fma_f64 v[56:57], v[83:84], s[6:7], v[70:71]
	s_delay_alu instid0(VALU_DEP_1) | instskip(NEXT) | instid1(VALU_DEP_1)
	v_fma_f64 v[56:57], v[81:82], s[2:3], v[56:57]
	v_fma_f64 v[56:57], v[79:80], s[10:11], v[56:57]
	ds_store_b64 v219, v[56:57] offset:14784
	s_waitcnt lgkmcnt(0)
	s_barrier
	buffer_gl0_inv
	s_and_saveexec_b32 s0, vcc_lo
	s_cbranch_execz .LBB0_21
; %bb.20:
	v_lshlrev_b32_e32 v73, 2, v255
	v_add_co_u32 v70, vcc_lo, 0x17a0, v75
	v_add_co_ci_u32_e32 v71, vcc_lo, 0, v76, vcc_lo
	s_delay_alu instid0(VALU_DEP_3)
	v_lshlrev_b64 v[56:57], 4, v[73:74]
	v_lshlrev_b32_e32 v73, 2, v186
	v_add_nc_u32_e32 v143, 0x2000, v253
	v_add_nc_u32_e32 v184, 0x1000, v253
	;; [unrolled: 1-line block ×4, first 2 shown]
	v_add_co_u32 v72, vcc_lo, s4, v56
	v_add_co_ci_u32_e32 v77, vcc_lo, s5, v57, vcc_lo
	v_lshlrev_b64 v[56:57], 4, v[73:74]
	s_delay_alu instid0(VALU_DEP_3) | instskip(NEXT) | instid1(VALU_DEP_3)
	v_add_co_u32 v101, vcc_lo, 0x17a0, v72
	v_add_co_ci_u32_e32 v102, vcc_lo, 0, v77, vcc_lo
	v_add_co_u32 v72, vcc_lo, 0x1000, v72
	v_add_co_ci_u32_e32 v73, vcc_lo, 0, v77, vcc_lo
	;; [unrolled: 2-line block ×3, first 2 shown]
	s_clause 0x1
	global_load_b128 v[77:80], v[70:71], off offset:32
	global_load_b128 v[81:84], v[101:102], off offset:16
	v_add_co_u32 v56, vcc_lo, 0x1000, v93
	v_add_co_ci_u32_e32 v57, vcc_lo, 0, v94, vcc_lo
	s_clause 0x1
	global_load_b128 v[85:88], v[72:73], off offset:1952
	global_load_b128 v[89:92], v[56:57], off offset:1952
	v_add_co_u32 v56, vcc_lo, 0x17a0, v93
	v_add_co_ci_u32_e32 v57, vcc_lo, 0, v94, vcc_lo
	v_add_co_u32 v75, vcc_lo, 0x1000, v75
	v_add_co_ci_u32_e32 v76, vcc_lo, 0, v76, vcc_lo
	s_clause 0x1
	global_load_b128 v[93:96], v[101:102], off offset:32
	global_load_b128 v[97:100], v[56:57], off offset:32
	v_lshlrev_b32_e32 v73, 2, v224
	s_clause 0x3
	global_load_b128 v[101:104], v[101:102], off offset:48
	global_load_b128 v[105:108], v[75:76], off offset:1952
	;; [unrolled: 1-line block ×4, first 2 shown]
	v_add_nc_u32_e32 v244, 0x3000, v253
	v_add_nc_u32_e32 v245, 0x1800, v253
	;; [unrolled: 1-line block ×3, first 2 shown]
	v_lshlrev_b64 v[117:118], 4, v[73:74]
	v_lshlrev_b32_e32 v73, 2, v223
	v_add_nc_u32_e32 v210, 0x3400, v253
	v_add_nc_u32_e32 v246, 0x400, v253
	s_delay_alu instid0(VALU_DEP_4)
	v_add_co_u32 v72, vcc_lo, s4, v117
	v_add_co_ci_u32_e32 v126, vcc_lo, s5, v118, vcc_lo
	v_lshlrev_b64 v[70:71], 4, v[73:74]
	s_clause 0x1
	global_load_b128 v[117:120], v[56:57], off offset:48
	global_load_b128 v[121:124], v[56:57], off offset:16
	v_add_co_u32 v56, vcc_lo, 0x17a0, v72
	v_add_co_ci_u32_e32 v57, vcc_lo, 0, v126, vcc_lo
	v_add_co_u32 v125, vcc_lo, 0x1000, v72
	v_add_co_ci_u32_e32 v126, vcc_lo, 0, v126, vcc_lo
	;; [unrolled: 2-line block ×3, first 2 shown]
	s_clause 0x3
	global_load_b128 v[125:128], v[125:126], off offset:1952
	global_load_b128 v[129:132], v[56:57], off offset:48
	;; [unrolled: 1-line block ×4, first 2 shown]
	v_add_co_u32 v56, vcc_lo, 0x17a0, v70
	v_add_co_ci_u32_e32 v57, vcc_lo, 0, v71, vcc_lo
	v_add_co_u32 v70, vcc_lo, 0x1000, v70
	v_add_co_ci_u32_e32 v71, vcc_lo, 0, v71, vcc_lo
	s_clause 0x3
	global_load_b128 v[146:149], v[70:71], off offset:1952
	global_load_b128 v[150:153], v[56:57], off offset:48
	;; [unrolled: 1-line block ×4, first 2 shown]
	v_lshlrev_b32_e32 v73, 2, v222
	s_delay_alu instid0(VALU_DEP_1) | instskip(SKIP_1) | instid1(VALU_DEP_2)
	v_lshlrev_b64 v[75:76], 4, v[73:74]
	v_lshlrev_b32_e32 v73, 2, v221
	v_add_co_u32 v72, vcc_lo, s4, v75
	s_delay_alu instid0(VALU_DEP_3) | instskip(NEXT) | instid1(VALU_DEP_3)
	v_add_co_ci_u32_e32 v76, vcc_lo, s5, v76, vcc_lo
	v_lshlrev_b64 v[141:142], 4, v[73:74]
	s_delay_alu instid0(VALU_DEP_3) | instskip(NEXT) | instid1(VALU_DEP_3)
	v_add_co_u32 v56, vcc_lo, 0x17a0, v72
	v_add_co_ci_u32_e32 v57, vcc_lo, 0, v76, vcc_lo
	v_add_co_u32 v75, vcc_lo, 0x1000, v72
	v_add_co_ci_u32_e32 v76, vcc_lo, 0, v76, vcc_lo
	s_clause 0x3
	global_load_b128 v[70:73], v[56:57], off offset:32
	global_load_b128 v[162:165], v[56:57], off offset:16
	;; [unrolled: 1-line block ×4, first 2 shown]
	v_add_co_u32 v75, vcc_lo, s4, v141
	v_add_co_ci_u32_e32 v76, vcc_lo, s5, v142, vcc_lo
	s_delay_alu instid0(VALU_DEP_2) | instskip(NEXT) | instid1(VALU_DEP_2)
	v_add_co_u32 v56, vcc_lo, 0x1000, v75
	v_add_co_ci_u32_e32 v57, vcc_lo, 0, v76, vcc_lo
	v_add_co_u32 v75, vcc_lo, 0x17a0, v75
	v_add_co_ci_u32_e32 v76, vcc_lo, 0, v76, vcc_lo
	s_clause 0x3
	global_load_b128 v[174:177], v[56:57], off offset:1952
	global_load_b128 v[178:181], v[75:76], off offset:48
	;; [unrolled: 1-line block ×4, first 2 shown]
	ds_load_2addr_b64 v[194:197], v143 offset0:76 offset1:131
	ds_load_2addr_b64 v[198:201], v184 offset0:148 offset1:203
	;; [unrolled: 1-line block ×3, first 2 shown]
	ds_load_b64 v[206:207], v253 offset:14960
	scratch_store_b32 off, v224, off offset:8 ; 4-byte Folded Spill
	s_waitcnt vmcnt(27) lgkmcnt(3)
	v_mul_f64 v[56:57], v[77:78], v[196:197]
	v_mul_f64 v[75:76], v[79:80], v[196:197]
	s_waitcnt vmcnt(26)
	v_mul_f64 v[141:142], v[81:82], v[194:195]
	v_mul_f64 v[182:183], v[83:84], v[194:195]
	ds_load_2addr_b64 v[194:197], v243 offset0:74 offset1:129
	s_waitcnt vmcnt(25) lgkmcnt(3)
	v_mul_f64 v[214:215], v[85:86], v[200:201]
	v_mul_f64 v[216:217], v[87:88], v[200:201]
	s_waitcnt vmcnt(24)
	v_mul_f64 v[218:219], v[89:90], v[198:199]
	v_mul_f64 v[220:221], v[91:92], v[198:199]
	ds_load_2addr_b64 v[198:201], v244 offset0:4 offset1:59
	s_waitcnt vmcnt(23) lgkmcnt(3)
	v_mul_f64 v[222:223], v[93:94], v[204:205]
	v_mul_f64 v[224:225], v[95:96], v[204:205]
	s_waitcnt vmcnt(22)
	v_mul_f64 v[229:230], v[99:100], v[202:203]
	s_waitcnt vmcnt(21) lgkmcnt(2)
	v_mul_f64 v[231:232], v[101:102], v[206:207]
	v_mul_f64 v[233:234], v[103:104], v[206:207]
	v_mul_f64 v[227:228], v[97:98], v[202:203]
	ds_load_2addr_b64 v[202:205], v245 offset0:2 offset1:57
	s_waitcnt vmcnt(20) lgkmcnt(2)
	v_mul_f64 v[235:236], v[105:106], v[196:197]
	v_mul_f64 v[196:197], v[107:108], v[196:197]
	ds_load_2addr_b64 v[206:209], v208 offset0:94 offset1:149
	ds_load_2addr_b64 v[210:213], v210 offset0:96 offset1:151
	s_waitcnt vmcnt(19) lgkmcnt(3)
	v_mul_f64 v[241:242], v[109:110], v[198:199]
	v_mul_f64 v[198:199], v[111:112], v[198:199]
	v_fma_f64 v[237:238], v[64:65], v[79:80], v[56:57]
	v_fma_f64 v[239:240], v[64:65], v[77:78], -v[75:76]
	ds_load_2addr_b64 v[75:78], v184 offset0:38 offset1:93
	v_fma_f64 v[141:142], v[62:63], v[83:84], v[141:142]
	v_fma_f64 v[182:183], v[62:63], v[81:82], -v[182:183]
	ds_load_2addr_b64 v[62:65], v185 offset0:40 offset1:95
	ds_load_2addr_b64 v[79:82], v245 offset0:112 offset1:167
	v_fma_f64 v[87:88], v[68:69], v[87:88], v[214:215]
	v_fma_f64 v[214:215], v[68:69], v[85:86], -v[216:217]
	v_fma_f64 v[91:92], v[66:67], v[91:92], v[218:219]
	v_fma_f64 v[89:90], v[66:67], v[89:90], -v[220:221]
	ds_load_2addr_b64 v[66:69], v244 offset0:114 offset1:169
	s_waitcnt vmcnt(18) lgkmcnt(6)
	v_mul_f64 v[216:217], v[113:114], v[202:203]
	v_mul_f64 v[202:203], v[115:116], v[202:203]
	s_waitcnt vmcnt(16) lgkmcnt(5)
	v_mul_f64 v[218:219], v[121:122], v[208:209]
	v_mul_f64 v[208:209], v[123:124], v[208:209]
	ds_load_2addr_b64 v[83:86], v143 offset0:186 offset1:241
	v_fma_f64 v[95:96], v[60:61], v[95:96], v[222:223]
	v_fma_f64 v[93:94], v[60:61], v[93:94], -v[224:225]
	v_fma_f64 v[97:98], v[58:59], v[97:98], -v[229:230]
	v_fma_f64 v[103:104], v[144:145], v[103:104], v[231:232]
	v_fma_f64 v[101:102], v[144:145], v[101:102], -v[233:234]
	s_waitcnt vmcnt(15) lgkmcnt(4)
	v_mul_f64 v[222:223], v[125:126], v[77:78]
	v_mul_f64 v[77:78], v[127:128], v[77:78]
	s_waitcnt vmcnt(12)
	v_mul_f64 v[143:144], v[137:138], v[206:207]
	s_waitcnt lgkmcnt(3)
	v_mul_f64 v[224:225], v[133:134], v[64:65]
	v_mul_f64 v[206:207], v[139:140], v[206:207]
	;; [unrolled: 1-line block ×3, first 2 shown]
	s_waitcnt vmcnt(8) lgkmcnt(2)
	v_mul_f64 v[231:232], v[158:159], v[81:82]
	v_fma_f64 v[107:108], v[14:15], v[107:108], v[235:236]
	v_fma_f64 v[14:15], v[14:15], v[105:106], -v[196:197]
	v_mul_f64 v[196:197], v[154:155], v[62:63]
	s_waitcnt lgkmcnt(1)
	v_mul_f64 v[233:234], v[150:151], v[68:69]
	v_fma_f64 v[235:236], v[28:29], v[111:112], v[241:242]
	v_fma_f64 v[198:199], v[28:29], v[109:110], -v[198:199]
	v_mul_f64 v[28:29], v[152:153], v[68:69]
	v_mul_f64 v[68:69], v[160:161], v[81:82]
	;; [unrolled: 1-line block ×3, first 2 shown]
	v_fma_f64 v[99:100], v[58:59], v[99:100], v[227:228]
	ds_load_2addr_b64 v[56:59], v243 offset0:184 offset1:239
	v_mul_f64 v[220:221], v[117:118], v[212:213]
	v_mul_f64 v[212:213], v[119:120], v[212:213]
	;; [unrolled: 1-line block ×6, first 2 shown]
	s_waitcnt vmcnt(6)
	v_mul_f64 v[109:110], v[162:163], v[79:80]
	v_mul_f64 v[79:80], v[164:165], v[79:80]
	ds_load_2addr_b64 v[62:65], v253 offset1:55
	v_fma_f64 v[111:112], v[24:25], v[115:116], v[216:217]
	v_fma_f64 v[24:25], v[24:25], v[113:114], -v[202:203]
	s_waitcnt vmcnt(4)
	v_mul_f64 v[115:116], v[170:171], v[66:67]
	v_mul_f64 v[66:67], v[172:173], v[66:67]
	v_fma_f64 v[123:124], v[50:51], v[123:124], v[218:219]
	v_fma_f64 v[50:51], v[50:51], v[121:122], -v[208:209]
	s_waitcnt lgkmcnt(2)
	v_mul_f64 v[202:203], v[70:71], v[85:86]
	v_mul_f64 v[85:86], v[72:73], v[85:86]
	s_waitcnt lgkmcnt(1)
	v_mul_f64 v[113:114], v[166:167], v[58:59]
	v_mul_f64 v[216:217], v[168:169], v[58:59]
	v_fma_f64 v[121:122], v[46:47], v[127:128], v[222:223]
	v_fma_f64 v[46:47], v[46:47], v[125:126], -v[77:78]
	s_waitcnt vmcnt(3)
	v_mul_f64 v[77:78], v[174:175], v[56:57]
	v_mul_f64 v[125:126], v[176:177], v[56:57]
	v_fma_f64 v[139:140], v[48:49], v[139:140], v[143:144]
	v_fma_f64 v[135:136], v[42:43], v[135:136], v[224:225]
	v_fma_f64 v[48:49], v[48:49], v[137:138], -v[206:207]
	v_fma_f64 v[42:43], v[42:43], v[133:134], -v[229:230]
	v_fma_f64 v[133:134], v[40:41], v[156:157], v[196:197]
	v_fma_f64 v[137:138], v[38:39], v[152:153], v[233:234]
	s_waitcnt vmcnt(2)
	v_mul_f64 v[127:128], v[178:179], v[200:201]
	v_mul_f64 v[200:201], v[180:181], v[200:201]
	v_fma_f64 v[143:144], v[38:39], v[150:151], -v[28:29]
	v_fma_f64 v[28:29], v[34:35], v[158:159], -v[68:69]
	;; [unrolled: 1-line block ×3, first 2 shown]
	v_add_f64 v[40:41], v[87:88], v[194:195]
	v_add_f64 v[68:69], v[12:13], v[214:215]
	v_fma_f64 v[119:120], v[54:55], v[119:120], v[220:221]
	v_fma_f64 v[117:118], v[54:55], v[117:118], -v[212:213]
	v_fma_f64 v[131:132], v[52:53], v[131:132], v[227:228]
	v_fma_f64 v[52:53], v[52:53], v[129:130], -v[210:211]
	v_fma_f64 v[129:130], v[34:35], v[160:161], v[231:232]
	v_fma_f64 v[105:106], v[44:45], v[148:149], v[105:106]
	v_fma_f64 v[44:45], v[44:45], v[146:147], -v[75:76]
	v_fma_f64 v[34:35], v[32:33], v[164:165], v[109:110]
	v_fma_f64 v[32:33], v[32:33], v[162:163], -v[79:80]
	v_add_f64 v[147:148], v[14:15], -v[198:199]
	v_add_f64 v[163:164], v[14:15], v[198:199]
	v_add_f64 v[161:162], v[24:25], -v[14:15]
	v_fma_f64 v[109:110], v[36:37], v[172:173], v[115:116]
	v_fma_f64 v[115:116], v[36:37], v[170:171], -v[66:67]
	ds_load_2addr_b64 v[54:57], v246 offset0:92 offset1:147
	v_add_f64 v[220:221], v[50:51], v[97:98]
	v_fma_f64 v[72:73], v[18:19], v[72:73], v[202:203]
	v_fma_f64 v[79:80], v[18:19], v[70:71], -v[85:86]
	v_add_f64 v[18:19], v[111:112], -v[107:108]
	v_fma_f64 v[75:76], v[22:23], v[168:169], v[113:114]
	v_fma_f64 v[22:23], v[22:23], v[166:167], -v[216:217]
	v_add_f64 v[165:166], v[14:15], -v[24:25]
	v_add_f64 v[169:170], v[0:1], v[14:15]
	v_fma_f64 v[77:78], v[20:21], v[176:177], v[77:78]
	v_fma_f64 v[125:126], v[20:21], v[174:175], -v[125:126]
	s_waitcnt vmcnt(1)
	v_mul_f64 v[208:209], v[186:187], v[204:205]
	v_mul_f64 v[204:205], v[188:189], v[204:205]
	s_waitcnt vmcnt(0)
	v_mul_f64 v[212:213], v[190:191], v[83:84]
	v_add_f64 v[224:225], v[48:49], v[42:43]
	v_mul_f64 v[83:84], v[192:193], v[83:84]
	v_add_f64 v[113:114], v[10:11], v[89:90]
	v_add_f64 v[66:67], v[214:215], v[101:102]
	;; [unrolled: 1-line block ×3, first 2 shown]
	v_fma_f64 v[127:128], v[30:31], v[180:181], v[127:128]
	s_waitcnt lgkmcnt(0)
	v_add_f64 v[81:82], v[91:92], v[56:57]
	v_add_f64 v[70:71], v[121:122], v[54:55]
	;; [unrolled: 1-line block ×4, first 2 shown]
	v_fma_f64 v[173:174], v[30:31], v[178:179], -v[200:201]
	v_add_f64 v[218:219], v[89:90], v[117:118]
	v_add_f64 v[40:41], v[182:183], -v[93:94]
	v_add_f64 v[222:223], v[46:47], v[52:53]
	v_add_f64 v[68:69], v[87:88], -v[141:142]
	v_add_f64 v[36:37], v[107:108], v[235:236]
	v_add_f64 v[157:158], v[111:112], v[237:238]
	v_add_f64 v[30:31], v[214:215], -v[101:102]
	v_add_f64 v[180:181], v[103:104], -v[95:96]
	;; [unrolled: 1-line block ×3, first 2 shown]
	ds_load_2addr_b64 v[58:61], v253 offset0:110 offset1:165
	v_add_f64 v[159:160], v[107:108], v[62:63]
	v_add_f64 v[200:201], v[123:124], -v[91:92]
	v_add_f64 v[202:203], v[99:100], -v[119:120]
	v_add_f64 v[206:207], v[91:92], v[119:120]
	v_fma_f64 v[220:221], v[220:221], -0.5, v[10:11]
	v_add_f64 v[210:211], v[121:122], v[131:132]
	v_add_f64 v[216:217], v[91:92], -v[123:124]
	v_add_f64 v[227:228], v[119:120], -v[99:100]
	;; [unrolled: 1-line block ×5, first 2 shown]
	v_add_f64 v[247:248], v[75:76], v[109:110]
	v_add_f64 v[251:252], v[48:49], -v[42:43]
	v_add_f64 v[253:254], v[48:49], -v[46:47]
	v_fma_f64 v[171:172], v[26:27], v[188:189], v[208:209]
	v_fma_f64 v[178:179], v[26:27], v[186:187], -v[204:205]
	v_fma_f64 v[176:177], v[16:17], v[192:193], v[212:213]
	v_fma_f64 v[224:225], v[224:225], -0.5, v[8:9]
	v_fma_f64 v[83:84], v[16:17], v[190:191], -v[83:84]
	v_add_f64 v[16:17], v[141:142], -v[87:88]
	v_add_f64 v[113:114], v[50:51], v[113:114]
	v_add_f64 v[186:187], v[141:142], v[95:96]
	v_add_f64 v[188:189], v[182:183], -v[214:215]
	v_add_f64 v[81:82], v[123:124], v[81:82]
	v_add_f64 v[141:142], v[141:142], -v[95:96]
	v_add_f64 v[14:15], v[95:96], v[14:15]
	v_add_f64 v[20:21], v[20:21], v[93:94]
	v_add_f64 v[192:193], v[214:215], -v[182:183]
	v_fma_f64 v[218:219], v[218:219], -0.5, v[10:11]
	v_fma_f64 v[66:67], v[66:67], -0.5, v[12:13]
	v_fma_f64 v[222:223], v[222:223], -0.5, v[8:9]
	v_add_f64 v[182:183], v[182:183], v[93:94]
	v_add_f64 v[155:156], v[48:49], v[155:156]
	v_add_f64 v[26:27], v[95:96], -v[103:104]
	v_add_f64 v[190:191], v[93:94], -v[101:102]
	v_add_f64 v[70:71], v[139:140], v[70:71]
	v_add_f64 v[204:205], v[89:90], -v[117:118]
	v_add_f64 v[208:209], v[123:124], v[99:100]
	v_add_f64 v[212:213], v[139:140], v[135:136]
	v_add_f64 v[214:215], v[50:51], -v[97:98]
	v_add_f64 v[123:124], v[123:124], -v[99:100]
	;; [unrolled: 1-line block ×5, first 2 shown]
	v_fma_f64 v[36:37], v[36:37], -0.5, v[62:63]
	v_fma_f64 v[62:63], v[157:158], -0.5, v[62:63]
	v_add_f64 v[149:150], v[24:25], -v[239:240]
	v_add_f64 v[167:168], v[24:25], v[239:240]
	v_add_f64 v[169:170], v[24:25], v[169:170]
	v_add_f64 v[24:25], v[137:138], -v[133:134]
	v_fma_f64 v[163:164], v[163:164], -0.5, v[0:1]
	v_add_f64 v[233:234], v[129:130], v[133:134]
	v_add_f64 v[241:242], v[44:45], v[143:144]
	;; [unrolled: 1-line block ×3, first 2 shown]
	v_fma_f64 v[206:207], v[206:207], -0.5, v[56:57]
	v_add_f64 v[249:250], v[34:35], v[72:73]
	v_add_f64 v[68:69], v[68:69], v[180:181]
	v_add_f64 v[85:86], v[107:108], -v[111:112]
	v_add_f64 v[95:96], v[113:114], v[97:98]
	v_fma_f64 v[186:187], v[186:187], -0.5, v[194:195]
	v_add_f64 v[97:98], v[135:136], -v[131:132]
	v_add_f64 v[81:82], v[99:100], v[81:82]
	v_add_f64 v[99:100], v[46:47], -v[52:53]
	v_add_f64 v[10:11], v[103:104], v[14:15]
	v_add_f64 v[8:9], v[20:21], v[101:102]
	scratch_store_b64 off, v[18:19], off offset:28 ; 8-byte Folded Spill
	v_add_f64 v[18:19], v[87:88], v[103:104]
	v_add_f64 v[87:88], v[87:88], -v[103:104]
	v_fma_f64 v[245:246], v[141:142], s[6:7], v[66:67]
	v_fma_f64 v[182:183], v[182:183], -0.5, v[12:13]
	v_fma_f64 v[66:67], v[141:142], s[14:15], v[66:67]
	v_add_f64 v[155:156], v[155:156], v[42:43]
	v_add_f64 v[20:21], v[77:78], v[127:128]
	;; [unrolled: 1-line block ×4, first 2 shown]
	v_add_f64 v[46:47], v[46:47], -v[48:49]
	v_add_f64 v[48:49], v[121:122], -v[139:140]
	;; [unrolled: 1-line block ×4, first 2 shown]
	v_add_f64 v[26:27], v[16:17], v[26:27]
	v_add_f64 v[113:114], v[105:106], v[137:138]
	v_fma_f64 v[56:57], v[208:209], -0.5, v[56:57]
	v_fma_f64 v[208:209], v[210:211], -0.5, v[54:55]
	v_add_f64 v[210:211], v[22:23], v[115:116]
	v_fma_f64 v[54:55], v[212:213], -0.5, v[54:55]
	v_fma_f64 v[167:168], v[167:168], -0.5, v[0:1]
	v_add_f64 v[0:1], v[176:177], -v[127:128]
	v_add_f64 v[212:213], v[32:33], v[79:80]
	v_add_f64 v[50:51], v[50:51], v[89:90]
	v_add_f64 v[89:90], v[109:110], -v[72:73]
	v_fma_f64 v[241:242], v[241:242], -0.5, v[6:7]
	v_fma_f64 v[243:244], v[243:244], -0.5, v[6:7]
	v_fma_f64 v[180:181], v[214:215], s[6:7], v[206:207]
	v_add_f64 v[107:108], v[107:108], -v[235:236]
	v_add_f64 v[159:160], v[111:112], v[159:160]
	v_add_f64 v[111:112], v[111:112], -v[237:238]
	v_add_f64 v[12:13], v[95:96], v[117:118]
	v_add_f64 v[117:118], v[42:43], -v[52:53]
	v_add_f64 v[42:43], v[52:53], -v[42:43]
	v_add_f64 v[14:15], v[119:120], v[81:82]
	v_add_f64 v[119:120], v[121:122], -v[131:132]
	v_add_f64 v[121:122], v[188:189], v[190:191]
	scratch_store_b128 off, v[8:11], off offset:12 ; 16-byte Folded Spill
	v_add_f64 v[190:191], v[129:130], -v[105:106]
	v_fma_f64 v[18:19], v[18:19], -0.5, v[194:195]
	v_fma_f64 v[184:185], v[30:31], s[6:7], v[186:187]
	v_fma_f64 v[188:189], v[87:88], s[12:13], v[245:246]
	v_add_f64 v[93:94], v[93:94], v[97:98]
	v_fma_f64 v[66:67], v[87:88], s[2:3], v[66:67]
	v_add_f64 v[16:17], v[155:156], v[52:53]
	v_add_f64 v[52:53], v[133:134], -v[137:138]
	v_fma_f64 v[157:158], v[20:21], -0.5, v[64:65]
	v_fma_f64 v[101:102], v[101:102], -0.5, v[64:65]
	v_add_f64 v[64:65], v[77:78], v[64:65]
	v_add_f64 v[20:21], v[28:29], -v[44:45]
	v_add_f64 v[97:98], v[32:33], -v[22:23]
	v_add_f64 v[48:49], v[48:49], v[135:136]
	v_add_f64 v[135:136], v[79:80], -v[115:116]
	s_waitcnt lgkmcnt(0)
	v_fma_f64 v[113:114], v[113:114], -0.5, v[60:61]
	v_add_f64 v[81:82], v[125:126], v[173:174]
	v_add_f64 v[95:96], v[178:179], v[83:84]
	v_fma_f64 v[155:156], v[249:250], -0.5, v[58:59]
	v_fma_f64 v[210:211], v[210:211], -0.5, v[4:5]
	v_add_f64 v[245:246], v[4:5], v[22:23]
	v_add_f64 v[249:250], v[2:3], v[125:126]
	v_fma_f64 v[212:213], v[212:213], -0.5, v[4:5]
	v_add_f64 v[4:5], v[178:179], -v[125:126]
	v_add_f64 v[145:146], v[235:236], -v[237:238]
	v_add_f64 v[169:170], v[169:170], v[239:240]
	v_fma_f64 v[180:181], v[204:205], s[12:13], v[180:181]
	v_add_f64 v[159:160], v[237:238], v[159:160]
	v_add_f64 v[117:118], v[253:254], v[117:118]
	v_add_f64 v[253:254], v[34:35], -v[72:73]
	v_fma_f64 v[194:195], v[40:41], s[14:15], v[18:19]
	v_fma_f64 v[18:19], v[40:41], s[6:7], v[18:19]
	;; [unrolled: 1-line block ×3, first 2 shown]
	v_add_f64 v[188:189], v[192:193], v[196:197]
	v_add_f64 v[196:197], v[34:35], -v[75:76]
	v_add_f64 v[192:193], v[143:144], -v[38:39]
	v_add_f64 v[190:191], v[190:191], v[52:53]
	v_add_f64 v[64:65], v[171:172], v[64:65]
	;; [unrolled: 1-line block ×3, first 2 shown]
	v_add_f64 v[97:98], v[127:128], -v[176:177]
	v_fma_f64 v[81:82], v[81:82], -0.5, v[2:3]
	v_fma_f64 v[95:96], v[95:96], -0.5, v[2:3]
	v_add_f64 v[10:11], v[32:33], v[245:246]
	v_add_f64 v[145:146], v[85:86], v[145:146]
	v_fma_f64 v[139:140], v[30:31], s[2:3], v[194:195]
	v_fma_f64 v[194:195], v[30:31], s[12:13], v[18:19]
	;; [unrolled: 1-line block ×5, first 2 shown]
	v_add_f64 v[18:19], v[131:132], v[70:71]
	v_fma_f64 v[131:132], v[247:248], -0.5, v[58:59]
	v_add_f64 v[247:248], v[105:106], -v[129:130]
	v_add_f64 v[70:71], v[105:106], v[60:61]
	v_fma_f64 v[60:61], v[233:234], -0.5, v[60:61]
	v_add_f64 v[233:234], v[6:7], v[44:45]
	v_fma_f64 v[6:7], v[121:122], s[10:11], v[66:67]
	v_fma_f64 v[66:67], v[123:124], s[6:7], v[218:219]
	;; [unrolled: 1-line block ×3, first 2 shown]
	v_add_f64 v[218:219], v[22:23], -v[32:33]
	v_add_f64 v[58:59], v[75:76], v[58:59]
	v_add_f64 v[121:122], v[44:45], -v[28:29]
	v_add_f64 v[44:45], v[44:45], -v[143:144]
	;; [unrolled: 1-line block ×3, first 2 shown]
	v_add_f64 v[10:11], v[10:11], v[79:80]
	v_fma_f64 v[153:154], v[26:27], s[10:11], v[139:140]
	v_add_f64 v[139:140], v[38:39], -v[143:144]
	v_fma_f64 v[8:9], v[26:27], s[10:11], v[194:195]
	v_add_f64 v[194:195], v[200:201], v[202:203]
	v_add_f64 v[200:201], v[216:217], v[227:228]
	;; [unrolled: 1-line block ×3, first 2 shown]
	v_fma_f64 v[46:47], v[40:41], s[2:3], v[184:185]
	v_fma_f64 v[30:31], v[40:41], s[12:13], v[30:31]
	;; [unrolled: 1-line block ×4, first 2 shown]
	v_add_f64 v[141:142], v[247:248], v[24:25]
	v_fma_f64 v[26:27], v[214:215], s[14:15], v[206:207]
	v_add_f64 v[42:43], v[115:116], -v[79:80]
	v_add_f64 v[202:203], v[72:73], -v[109:110]
	v_add_f64 v[206:207], v[229:230], v[231:232]
	v_add_f64 v[216:217], v[75:76], -v[34:35]
	v_fma_f64 v[66:67], v[91:92], s[12:13], v[66:67]
	v_fma_f64 v[182:183], v[91:92], s[2:3], v[182:183]
	v_add_f64 v[87:88], v[28:29], -v[38:39]
	v_add_f64 v[186:187], v[129:130], -v[133:134]
	;; [unrolled: 1-line block ×3, first 2 shown]
	v_add_f64 v[70:71], v[129:130], v[70:71]
	v_add_f64 v[129:130], v[32:33], -v[79:80]
	v_add_f64 v[75:76], v[75:76], -v[109:110]
	v_add_f64 v[233:234], v[28:29], v[233:234]
	v_add_f64 v[58:59], v[34:35], v[58:59]
	;; [unrolled: 1-line block ×3, first 2 shown]
	v_add_f64 v[192:193], v[171:172], -v[77:78]
	v_add_f64 v[184:185], v[198:199], -v[239:240]
	;; [unrolled: 1-line block ×3, first 2 shown]
	v_add_f64 v[139:140], v[20:21], v[139:140]
	v_fma_f64 v[34:35], v[194:195], s[10:11], v[180:181]
	v_fma_f64 v[180:181], v[119:120], s[14:15], v[224:225]
	;; [unrolled: 1-line block ×6, first 2 shown]
	v_add_f64 v[188:189], v[171:172], -v[176:177]
	v_add_f64 v[175:176], v[176:177], v[64:65]
	scratch_load_b64 v[64:65], off, off offset:28 ; 8-byte Folded Reload
	v_fma_f64 v[231:232], v[204:205], s[2:3], v[26:27]
	v_add_f64 v[218:219], v[218:219], v[42:43]
	v_fma_f64 v[42:43], v[204:205], s[6:7], v[56:57]
	v_fma_f64 v[56:57], v[204:205], s[14:15], v[56:57]
	;; [unrolled: 1-line block ×4, first 2 shown]
	v_add_f64 v[2:3], v[196:197], v[202:203]
	v_add_f64 v[202:203], v[216:217], v[89:90]
	v_add_f64 v[89:90], v[178:179], -v[83:84]
	v_fma_f64 v[40:41], v[251:252], s[14:15], v[208:209]
	v_fma_f64 v[26:27], v[68:69], s[10:11], v[30:31]
	;; [unrolled: 1-line block ×7, first 2 shown]
	v_add_f64 v[196:197], v[125:126], -v[173:174]
	v_add_f64 v[216:217], v[77:78], -v[171:172]
	v_fma_f64 v[28:29], v[206:207], s[10:11], v[66:67]
	v_fma_f64 v[66:67], v[103:104], s[6:7], v[222:223]
	v_fma_f64 v[171:172], v[87:88], s[14:15], v[113:114]
	v_fma_f64 v[113:114], v[87:88], s[6:7], v[113:114]
	v_add_f64 v[77:78], v[77:78], -v[127:128]
	v_add_f64 v[133:134], v[133:134], v[70:71]
	v_fma_f64 v[70:71], v[186:187], s[6:7], v[241:242]
	v_fma_f64 v[206:207], v[186:187], s[14:15], v[241:242]
	v_add_f64 v[208:209], v[233:234], v[38:39]
	v_fma_f64 v[38:39], v[105:106], s[14:15], v[243:244]
	v_fma_f64 v[220:221], v[105:106], s[6:7], v[243:244]
	v_add_f64 v[72:73], v[72:73], v[58:59]
	v_fma_f64 v[58:59], v[129:130], s[14:15], v[131:132]
	v_add_f64 v[224:225], v[83:84], -v[173:174]
	v_fma_f64 v[180:181], v[103:104], s[12:13], v[180:181]
	v_add_f64 v[125:126], v[125:126], -v[178:179]
	v_add_f64 v[178:179], v[178:179], v[249:250]
	v_add_f64 v[0:1], v[192:193], v[0:1]
	v_fma_f64 v[131:132], v[129:130], s[6:7], v[131:132]
	v_fma_f64 v[241:242], v[147:148], s[14:15], v[62:63]
	;; [unrolled: 1-line block ×22, first 2 shown]
	v_add_f64 v[119:120], v[173:174], -v[83:84]
	v_fma_f64 v[113:114], v[44:45], s[12:13], v[113:114]
	v_fma_f64 v[171:172], v[44:45], s[2:3], v[171:172]
	;; [unrolled: 1-line block ×11, first 2 shown]
	v_add_f64 v[4:5], v[4:5], v[224:225]
	v_fma_f64 v[101:102], v[196:197], s[14:15], v[101:102]
	v_add_f64 v[177:178], v[178:179], v[83:84]
	v_fma_f64 v[182:183], v[149:150], s[14:15], v[36:37]
	v_fma_f64 v[131:132], v[247:248], s[12:13], v[131:132]
	;; [unrolled: 1-line block ×14, first 2 shown]
	v_add_f64 v[165:166], v[165:166], v[184:185]
	v_fma_f64 v[231:232], v[149:150], s[6:7], v[36:37]
	v_fma_f64 v[54:55], v[48:49], s[10:11], v[52:53]
	v_fma_f64 v[58:59], v[48:49], s[10:11], v[212:213]
	v_fma_f64 v[48:49], v[117:118], s[10:11], v[68:69]
	v_fma_f64 v[56:57], v[227:228], s[10:11], v[103:104]
	v_add_f64 v[68:69], v[237:238], -v[235:236]
	v_fma_f64 v[52:53], v[227:228], s[10:11], v[180:181]
	v_fma_f64 v[214:215], v[129:130], s[2:3], v[214:215]
	v_add_f64 v[119:120], v[125:126], v[119:120]
	v_fma_f64 v[129:130], v[129:130], s[12:13], v[155:156]
	v_fma_f64 v[155:156], v[107:108], s[14:15], v[167:168]
	;; [unrolled: 1-line block ×5, first 2 shown]
	v_add_f64 v[113:114], v[216:217], v[97:98]
	v_fma_f64 v[117:118], v[89:90], s[2:3], v[206:207]
	v_fma_f64 v[62:63], v[190:191], s[10:11], v[171:172]
	v_fma_f64 v[125:126], v[188:189], s[12:13], v[220:221]
	v_fma_f64 v[180:181], v[188:189], s[2:3], v[95:96]
	v_fma_f64 v[190:191], v[149:150], s[12:13], v[241:242]
	v_fma_f64 v[149:150], v[149:150], s[2:3], v[233:234]
	v_fma_f64 v[171:172], v[89:90], s[12:13], v[101:102]
	v_add_f64 v[161:162], v[161:162], v[229:230]
	v_fma_f64 v[85:86], v[2:3], s[10:11], v[249:250]
	v_fma_f64 v[89:90], v[2:3], s[10:11], v[131:132]
	;; [unrolled: 1-line block ×18, first 2 shown]
	v_add_f64 v[101:102], v[109:110], v[72:73]
	v_add_f64 v[99:100], v[10:11], v[115:116]
	;; [unrolled: 1-line block ×3, first 2 shown]
	v_mov_b32_e32 v227, v74
	v_add_f64 v[81:82], v[137:138], v[133:134]
	v_add_f64 v[79:80], v[208:209], v[143:144]
	v_fma_f64 v[97:98], v[202:203], s[10:11], v[129:130]
	v_fma_f64 v[155:156], v[111:112], s[12:13], v[155:156]
	;; [unrolled: 1-line block ×7, first 2 shown]
	v_add_f64 v[117:118], v[127:128], v[175:176]
	v_fma_f64 v[107:108], v[119:120], s[10:11], v[125:126]
	v_fma_f64 v[111:112], v[119:120], s[10:11], v[180:181]
	v_add_f64 v[119:120], v[169:170], v[198:199]
	v_fma_f64 v[125:126], v[145:146], s[10:11], v[190:191]
	v_fma_f64 v[113:114], v[113:114], s[10:11], v[171:172]
	;; [unrolled: 1-line block ×11, first 2 shown]
	s_waitcnt vmcnt(0)
	v_add_f64 v[188:189], v[64:65], v[68:69]
	v_fma_f64 v[64:65], v[139:140], s[10:11], v[105:106]
	v_fma_f64 v[105:106], v[0:1], s[10:11], v[103:104]
	;; [unrolled: 1-line block ×3, first 2 shown]
	scratch_load_b64 v[4:5], off, off       ; 8-byte Folded Reload
	v_fma_f64 v[139:140], v[147:148], s[2:3], v[182:183]
	v_fma_f64 v[68:69], v[121:122], s[10:11], v[245:246]
	v_add_f64 v[121:122], v[235:236], v[159:160]
	v_lshlrev_b64 v[0:1], 4, v[226:227]
	v_fma_f64 v[133:134], v[188:189], s[10:11], v[184:185]
	v_fma_f64 v[141:142], v[188:189], s[10:11], v[139:140]
	v_fma_f64 v[139:140], v[161:162], s[10:11], v[2:3]
	s_waitcnt vmcnt(0)
	v_add_co_u32 v145, vcc_lo, s8, v4
	v_add_co_ci_u32_e32 v146, vcc_lo, s9, v5, vcc_lo
	s_delay_alu instid0(VALU_DEP_2) | instskip(NEXT) | instid1(VALU_DEP_2)
	v_add_co_u32 v0, vcc_lo, v145, v0
	v_add_co_ci_u32_e32 v1, vcc_lo, v146, v1, vcc_lo
	s_delay_alu instid0(VALU_DEP_2) | instskip(NEXT) | instid1(VALU_DEP_2)
	v_add_co_u32 v2, vcc_lo, 0x1000, v0
	v_add_co_ci_u32_e32 v3, vcc_lo, 0, v1, vcc_lo
	v_add_co_u32 v4, vcc_lo, 0x3000, v0
	v_add_co_ci_u32_e32 v5, vcc_lo, 0, v1, vcc_lo
	;; [unrolled: 2-line block ×4, first 2 shown]
	s_clause 0x5
	global_store_b128 v[0:1], v[119:122], off
	global_store_b128 v[0:1], v[115:118], off offset:880
	global_store_b128 v[2:3], v[123:126], off offset:2064
	;; [unrolled: 1-line block ×5, first 2 shown]
	scratch_load_b32 v72, off, off offset:8 ; 4-byte Folded Reload
	s_clause 0x7
	global_store_b128 v[4:5], v[131:134], off offset:32
	global_store_b128 v[2:3], v[95:98], off offset:3824
	;; [unrolled: 1-line block ×8, first 2 shown]
	v_add_co_u32 v79, vcc_lo, 0x2000, v0
	v_add_co_ci_u32_e32 v80, vcc_lo, 0, v1, vcc_lo
	v_add_co_u32 v81, vcc_lo, 0x5000, v0
	v_add_co_ci_u32_e32 v82, vcc_lo, 0, v1, vcc_lo
	s_clause 0x5
	global_store_b128 v[10:11], v[139:142], off offset:2096
	global_store_b128 v[4:5], v[64:67], off offset:2672
	;; [unrolled: 1-line block ×6, first 2 shown]
	v_mul_hi_u32 v68, 0x551c979b, v255
	s_delay_alu instid0(VALU_DEP_1) | instskip(SKIP_2) | instid1(VALU_DEP_1)
	v_lshrrev_b32_e32 v68, 7, v68
	s_waitcnt vmcnt(0)
	v_mul_hi_u32 v72, 0x551c979b, v72
	v_lshrrev_b32_e32 v72, 7, v72
	s_delay_alu instid0(VALU_DEP_1) | instskip(NEXT) | instid1(VALU_DEP_1)
	v_mul_u32_u24_e32 v73, 0x604, v72
	v_lshlrev_b64 v[72:73], 4, v[73:74]
	s_delay_alu instid0(VALU_DEP_1) | instskip(NEXT) | instid1(VALU_DEP_2)
	v_add_co_u32 v4, vcc_lo, v0, v72
	v_add_co_ci_u32_e32 v5, vcc_lo, v1, v73, vcc_lo
	v_mad_u32_u24 v73, 0x604, v68, v255
	s_delay_alu instid0(VALU_DEP_3) | instskip(NEXT) | instid1(VALU_DEP_3)
	v_add_co_u32 v60, vcc_lo, 0x2000, v4
	v_add_co_ci_u32_e32 v61, vcc_lo, 0, v5, vcc_lo
	v_add_co_u32 v62, vcc_lo, 0x3000, v4
	v_add_co_ci_u32_e32 v63, vcc_lo, 0, v5, vcc_lo
	;; [unrolled: 2-line block ×4, first 2 shown]
	s_clause 0x8
	global_store_b128 v[4:5], v[16:19], off offset:3520
	global_store_b128 v[60:61], v[56:59], off offset:1488
	;; [unrolled: 1-line block ×9, first 2 shown]
	scratch_load_b128 v[14:17], off, off offset:12 ; 16-byte Folded Reload
	v_lshlrev_b64 v[2:3], 4, v[73:74]
	v_add_co_u32 v0, vcc_lo, 0x7000, v0
	v_add_co_ci_u32_e32 v1, vcc_lo, 0, v1, vcc_lo
	s_delay_alu instid0(VALU_DEP_3) | instskip(NEXT) | instid1(VALU_DEP_4)
	v_add_co_u32 v2, vcc_lo, v145, v2
	v_add_co_ci_u32_e32 v3, vcc_lo, v146, v3, vcc_lo
	global_store_b128 v[0:1], v[36:39], off offset:368
	v_add_co_u32 v0, vcc_lo, 0x1000, v2
	v_add_co_ci_u32_e32 v1, vcc_lo, 0, v3, vcc_lo
	v_add_co_u32 v4, vcc_lo, 0x3000, v2
	v_add_co_ci_u32_e32 v5, vcc_lo, 0, v3, vcc_lo
	;; [unrolled: 2-line block ×4, first 2 shown]
	s_waitcnt vmcnt(0)
	s_clause 0x4
	global_store_b128 v[2:3], v[14:17], off
	global_store_b128 v[0:1], v[24:27], off offset:2064
	global_store_b128 v[4:5], v[6:9], off offset:32
	;; [unrolled: 1-line block ×4, first 2 shown]
.LBB0_21:
	s_endpgm
	.section	.rodata,"a",@progbits
	.p2align	6, 0x0
	.amdhsa_kernel fft_rtc_fwd_len1925_factors_7_11_5_5_wgs_55_tpt_55_halfLds_dp_ip_CI_unitstride_sbrr_dirReg
		.amdhsa_group_segment_fixed_size 0
		.amdhsa_private_segment_fixed_size 316
		.amdhsa_kernarg_size 88
		.amdhsa_user_sgpr_count 15
		.amdhsa_user_sgpr_dispatch_ptr 0
		.amdhsa_user_sgpr_queue_ptr 0
		.amdhsa_user_sgpr_kernarg_segment_ptr 1
		.amdhsa_user_sgpr_dispatch_id 0
		.amdhsa_user_sgpr_private_segment_size 0
		.amdhsa_wavefront_size32 1
		.amdhsa_uses_dynamic_stack 0
		.amdhsa_enable_private_segment 1
		.amdhsa_system_sgpr_workgroup_id_x 1
		.amdhsa_system_sgpr_workgroup_id_y 0
		.amdhsa_system_sgpr_workgroup_id_z 0
		.amdhsa_system_sgpr_workgroup_info 0
		.amdhsa_system_vgpr_workitem_id 0
		.amdhsa_next_free_vgpr 256
		.amdhsa_next_free_sgpr 36
		.amdhsa_reserve_vcc 1
		.amdhsa_float_round_mode_32 0
		.amdhsa_float_round_mode_16_64 0
		.amdhsa_float_denorm_mode_32 3
		.amdhsa_float_denorm_mode_16_64 3
		.amdhsa_dx10_clamp 1
		.amdhsa_ieee_mode 1
		.amdhsa_fp16_overflow 0
		.amdhsa_workgroup_processor_mode 1
		.amdhsa_memory_ordered 1
		.amdhsa_forward_progress 0
		.amdhsa_shared_vgpr_count 0
		.amdhsa_exception_fp_ieee_invalid_op 0
		.amdhsa_exception_fp_denorm_src 0
		.amdhsa_exception_fp_ieee_div_zero 0
		.amdhsa_exception_fp_ieee_overflow 0
		.amdhsa_exception_fp_ieee_underflow 0
		.amdhsa_exception_fp_ieee_inexact 0
		.amdhsa_exception_int_div_zero 0
	.end_amdhsa_kernel
	.text
.Lfunc_end0:
	.size	fft_rtc_fwd_len1925_factors_7_11_5_5_wgs_55_tpt_55_halfLds_dp_ip_CI_unitstride_sbrr_dirReg, .Lfunc_end0-fft_rtc_fwd_len1925_factors_7_11_5_5_wgs_55_tpt_55_halfLds_dp_ip_CI_unitstride_sbrr_dirReg
                                        ; -- End function
	.section	.AMDGPU.csdata,"",@progbits
; Kernel info:
; codeLenInByte = 33416
; NumSgprs: 38
; NumVgprs: 256
; ScratchSize: 316
; MemoryBound: 1
; FloatMode: 240
; IeeeMode: 1
; LDSByteSize: 0 bytes/workgroup (compile time only)
; SGPRBlocks: 4
; VGPRBlocks: 31
; NumSGPRsForWavesPerEU: 38
; NumVGPRsForWavesPerEU: 256
; Occupancy: 5
; WaveLimiterHint : 1
; COMPUTE_PGM_RSRC2:SCRATCH_EN: 1
; COMPUTE_PGM_RSRC2:USER_SGPR: 15
; COMPUTE_PGM_RSRC2:TRAP_HANDLER: 0
; COMPUTE_PGM_RSRC2:TGID_X_EN: 1
; COMPUTE_PGM_RSRC2:TGID_Y_EN: 0
; COMPUTE_PGM_RSRC2:TGID_Z_EN: 0
; COMPUTE_PGM_RSRC2:TIDIG_COMP_CNT: 0
	.text
	.p2alignl 7, 3214868480
	.fill 96, 4, 3214868480
	.type	__hip_cuid_3b2c1b75d5f378ea,@object ; @__hip_cuid_3b2c1b75d5f378ea
	.section	.bss,"aw",@nobits
	.globl	__hip_cuid_3b2c1b75d5f378ea
__hip_cuid_3b2c1b75d5f378ea:
	.byte	0                               ; 0x0
	.size	__hip_cuid_3b2c1b75d5f378ea, 1

	.ident	"AMD clang version 19.0.0git (https://github.com/RadeonOpenCompute/llvm-project roc-6.4.0 25133 c7fe45cf4b819c5991fe208aaa96edf142730f1d)"
	.section	".note.GNU-stack","",@progbits
	.addrsig
	.addrsig_sym __hip_cuid_3b2c1b75d5f378ea
	.amdgpu_metadata
---
amdhsa.kernels:
  - .args:
      - .actual_access:  read_only
        .address_space:  global
        .offset:         0
        .size:           8
        .value_kind:     global_buffer
      - .offset:         8
        .size:           8
        .value_kind:     by_value
      - .actual_access:  read_only
        .address_space:  global
        .offset:         16
        .size:           8
        .value_kind:     global_buffer
      - .actual_access:  read_only
        .address_space:  global
        .offset:         24
        .size:           8
        .value_kind:     global_buffer
      - .offset:         32
        .size:           8
        .value_kind:     by_value
      - .actual_access:  read_only
        .address_space:  global
        .offset:         40
        .size:           8
        .value_kind:     global_buffer
      - .actual_access:  read_only
        .address_space:  global
        .offset:         48
        .size:           8
        .value_kind:     global_buffer
      - .offset:         56
        .size:           4
        .value_kind:     by_value
      - .actual_access:  read_only
        .address_space:  global
        .offset:         64
        .size:           8
        .value_kind:     global_buffer
      - .actual_access:  read_only
        .address_space:  global
        .offset:         72
        .size:           8
        .value_kind:     global_buffer
      - .address_space:  global
        .offset:         80
        .size:           8
        .value_kind:     global_buffer
    .group_segment_fixed_size: 0
    .kernarg_segment_align: 8
    .kernarg_segment_size: 88
    .language:       OpenCL C
    .language_version:
      - 2
      - 0
    .max_flat_workgroup_size: 55
    .name:           fft_rtc_fwd_len1925_factors_7_11_5_5_wgs_55_tpt_55_halfLds_dp_ip_CI_unitstride_sbrr_dirReg
    .private_segment_fixed_size: 316
    .sgpr_count:     38
    .sgpr_spill_count: 0
    .symbol:         fft_rtc_fwd_len1925_factors_7_11_5_5_wgs_55_tpt_55_halfLds_dp_ip_CI_unitstride_sbrr_dirReg.kd
    .uniform_work_group_size: 1
    .uses_dynamic_stack: false
    .vgpr_count:     256
    .vgpr_spill_count: 82
    .wavefront_size: 32
    .workgroup_processor_mode: 1
amdhsa.target:   amdgcn-amd-amdhsa--gfx1100
amdhsa.version:
  - 1
  - 2
...

	.end_amdgpu_metadata
